;; amdgpu-corpus repo=ROCm/rocFFT kind=compiled arch=gfx1030 opt=O3
	.text
	.amdgcn_target "amdgcn-amd-amdhsa--gfx1030"
	.amdhsa_code_object_version 6
	.protected	bluestein_single_back_len891_dim1_half_op_CI_CI ; -- Begin function bluestein_single_back_len891_dim1_half_op_CI_CI
	.globl	bluestein_single_back_len891_dim1_half_op_CI_CI
	.p2align	8
	.type	bluestein_single_back_len891_dim1_half_op_CI_CI,@function
bluestein_single_back_len891_dim1_half_op_CI_CI: ; @bluestein_single_back_len891_dim1_half_op_CI_CI
; %bb.0:
	s_load_dwordx4 s[12:15], s[4:5], 0x28
	v_mul_u32_u24_e32 v1, 0x296, v0
	v_mov_b32_e32 v9, 0
	s_mov_b32 s0, exec_lo
	v_lshrrev_b32_e32 v1, 16, v1
	v_lshl_add_u32 v8, s6, 1, v1
	s_waitcnt lgkmcnt(0)
	v_cmpx_gt_u64_e64 s[12:13], v[8:9]
	s_cbranch_execz .LBB0_10
; %bb.1:
	s_clause 0x1
	s_load_dwordx4 s[8:11], s[4:5], 0x18
	s_load_dwordx4 s[0:3], s[4:5], 0x0
	v_mul_lo_u16 v2, 0x63, v1
	s_load_dwordx2 s[4:5], s[4:5], 0x38
                                        ; implicit-def: $vgpr62
                                        ; implicit-def: $vgpr61
                                        ; implicit-def: $vgpr63
	v_sub_nc_u16 v13, v0, v2
	v_and_b32_e32 v39, 0xffff, v13
	s_waitcnt lgkmcnt(0)
	s_load_dwordx4 s[16:19], s[8:9], 0x0
	s_waitcnt lgkmcnt(0)
	v_mad_u64_u32 v[2:3], null, s18, v8, 0
	v_mad_u64_u32 v[4:5], null, s16, v39, 0
	s_mul_hi_u32 s7, s16, 0x18c
	s_mul_i32 s8, s16, 0x18c
	v_mov_b32_e32 v0, v3
	v_mov_b32_e32 v3, v5
	v_mad_u64_u32 v[5:6], null, s19, v8, v[0:1]
	v_mad_u64_u32 v[6:7], null, s17, v39, v[3:4]
	v_lshlrev_b32_e32 v0, 2, v39
	v_and_b32_e32 v1, 1, v1
	v_mov_b32_e32 v3, v5
	v_add_co_u32 v23, s6, s0, v0
	v_mov_b32_e32 v5, v6
	v_add_co_ci_u32_e64 v25, null, s1, 0, s6
	v_lshlrev_b64 v[2:3], 2, v[2:3]
	s_mul_i32 s6, s17, 0x18c
	v_lshlrev_b64 v[4:5], 2, v[4:5]
	s_add_i32 s7, s7, s6
	v_add_co_u32 v2, vcc_lo, s14, v2
	v_add_co_ci_u32_e32 v3, vcc_lo, s15, v3, vcc_lo
	v_add_co_u32 v2, vcc_lo, v2, v4
	v_add_co_ci_u32_e32 v3, vcc_lo, v3, v5, vcc_lo
	;; [unrolled: 2-line block ×3, first 2 shown]
	global_load_dword v6, v[2:3], off
	v_add_co_u32 v2, vcc_lo, v4, s8
	v_add_co_ci_u32_e32 v3, vcc_lo, s7, v5, vcc_lo
	s_clause 0x5
	global_load_dword v41, v0, s[0:1]
	global_load_dword v40, v0, s[0:1] offset:396
	global_load_dword v38, v0, s[0:1] offset:792
	;; [unrolled: 1-line block ×5, first 2 shown]
	s_clause 0x1
	global_load_dword v7, v[4:5], off
	global_load_dword v9, v[2:3], off
	v_add_co_u32 v2, vcc_lo, v2, s8
	v_add_co_ci_u32_e32 v3, vcc_lo, s7, v3, vcc_lo
	v_add_co_u32 v11, vcc_lo, 0x800, v23
	v_add_co_ci_u32_e32 v12, vcc_lo, 0, v25, vcc_lo
	;; [unrolled: 2-line block ×3, first 2 shown]
	s_clause 0x1
	global_load_dword v10, v[2:3], off
	global_load_dword v14, v[4:5], off
	v_add_co_u32 v2, vcc_lo, v4, s8
	v_add_co_ci_u32_e32 v3, vcc_lo, s7, v5, vcc_lo
	v_add_co_u32 v4, vcc_lo, v2, s8
	v_add_co_ci_u32_e32 v5, vcc_lo, s7, v3, vcc_lo
	global_load_dword v15, v[2:3], off
	v_add_co_u32 v2, vcc_lo, v4, s8
	v_add_co_ci_u32_e32 v3, vcc_lo, s7, v5, vcc_lo
	global_load_dword v16, v[4:5], off
	v_add_co_u32 v4, vcc_lo, v2, s8
	v_add_co_ci_u32_e32 v5, vcc_lo, s7, v3, vcc_lo
	global_load_dword v34, v[11:12], off offset:328
	global_load_dword v2, v[2:3], off
	global_load_dword v3, v[4:5], off
	s_clause 0x1
	global_load_dword v32, v[11:12], off offset:724
	global_load_dword v31, v[11:12], off offset:1120
	v_cmp_eq_u32_e32 vcc_lo, 1, v1
	s_load_dwordx4 s[8:11], s[10:11], 0x0
	v_cndmask_b32_e64 v1, 0, 0x37b, vcc_lo
	v_cmp_gt_u16_e32 vcc_lo, 0x51, v13
	v_lshlrev_b32_e32 v42, 2, v1
	v_add_nc_u32_e32 v33, v42, v0
	v_add_nc_u32_e32 v1, 0x400, v33
	;; [unrolled: 1-line block ×4, first 2 shown]
	s_waitcnt vmcnt(17)
	v_lshrrev_b32_e32 v4, 16, v6
	s_waitcnt vmcnt(16)
	v_mul_f16_sdwa v17, v41, v6 dst_sel:DWORD dst_unused:UNUSED_PAD src0_sel:WORD_1 src1_sel:DWORD
	s_waitcnt vmcnt(10)
	v_lshrrev_b32_e32 v19, 16, v7
	v_mul_f16_sdwa v18, v41, v4 dst_sel:DWORD dst_unused:UNUSED_PAD src0_sel:WORD_1 src1_sel:DWORD
	v_fma_f16 v4, v41, v4, -v17
	s_waitcnt vmcnt(9)
	v_lshrrev_b32_e32 v17, 16, v9
	v_mul_f16_sdwa v20, v40, v7 dst_sel:DWORD dst_unused:UNUSED_PAD src0_sel:WORD_1 src1_sel:DWORD
	v_fmac_f16_e32 v18, v41, v6
	v_mul_f16_sdwa v6, v40, v19 dst_sel:DWORD dst_unused:UNUSED_PAD src0_sel:WORD_1 src1_sel:DWORD
	v_fma_f16 v19, v40, v19, -v20
	v_mul_f16_sdwa v20, v38, v9 dst_sel:DWORD dst_unused:UNUSED_PAD src0_sel:WORD_1 src1_sel:DWORD
	v_pack_b32_f16 v4, v18, v4
	v_fmac_f16_e32 v6, v40, v7
	v_mul_f16_sdwa v7, v38, v17 dst_sel:DWORD dst_unused:UNUSED_PAD src0_sel:WORD_1 src1_sel:DWORD
	s_waitcnt vmcnt(8)
	v_lshrrev_b32_e32 v18, 16, v10
	v_mul_f16_sdwa v21, v37, v10 dst_sel:DWORD dst_unused:UNUSED_PAD src0_sel:WORD_1 src1_sel:DWORD
	v_fma_f16 v17, v38, v17, -v20
	v_pack_b32_f16 v6, v6, v19
	v_fmac_f16_e32 v7, v38, v9
	v_mul_f16_sdwa v9, v37, v18 dst_sel:DWORD dst_unused:UNUSED_PAD src0_sel:WORD_1 src1_sel:DWORD
	v_fma_f16 v18, v37, v18, -v21
	s_waitcnt vmcnt(7)
	v_lshrrev_b32_e32 v19, 16, v14
	v_mul_f16_sdwa v20, v36, v14 dst_sel:DWORD dst_unused:UNUSED_PAD src0_sel:WORD_1 src1_sel:DWORD
	v_pack_b32_f16 v7, v7, v17
	v_fmac_f16_e32 v9, v37, v10
	v_mul_f16_sdwa v17, v36, v19 dst_sel:DWORD dst_unused:UNUSED_PAD src0_sel:WORD_1 src1_sel:DWORD
	s_waitcnt vmcnt(6)
	v_lshrrev_b32_e32 v10, 16, v15
	v_fma_f16 v19, v36, v19, -v20
	v_mul_f16_sdwa v20, v35, v15 dst_sel:DWORD dst_unused:UNUSED_PAD src0_sel:WORD_1 src1_sel:DWORD
	v_pack_b32_f16 v9, v9, v18
	v_fmac_f16_e32 v17, v36, v14
	v_mul_f16_sdwa v18, v35, v10 dst_sel:DWORD dst_unused:UNUSED_PAD src0_sel:WORD_1 src1_sel:DWORD
	s_waitcnt vmcnt(5)
	v_lshrrev_b32_e32 v14, 16, v16
	v_fma_f16 v10, v35, v10, -v20
	s_waitcnt vmcnt(4)
	v_mul_f16_sdwa v20, v34, v16 dst_sel:DWORD dst_unused:UNUSED_PAD src0_sel:WORD_1 src1_sel:DWORD
	s_waitcnt vmcnt(2)
	v_lshrrev_b32_e32 v22, 16, v3
	v_fmac_f16_e32 v18, v35, v15
	v_lshrrev_b32_e32 v15, 16, v2
	v_mul_f16_sdwa v21, v34, v14 dst_sel:DWORD dst_unused:UNUSED_PAD src0_sel:WORD_1 src1_sel:DWORD
	v_fma_f16 v14, v34, v14, -v20
	s_waitcnt vmcnt(1)
	v_mul_f16_sdwa v20, v32, v2 dst_sel:DWORD dst_unused:UNUSED_PAD src0_sel:WORD_1 src1_sel:DWORD
	s_waitcnt vmcnt(0)
	v_mul_f16_sdwa v26, v31, v3 dst_sel:DWORD dst_unused:UNUSED_PAD src0_sel:WORD_1 src1_sel:DWORD
	v_mul_f16_sdwa v24, v32, v15 dst_sel:DWORD dst_unused:UNUSED_PAD src0_sel:WORD_1 src1_sel:DWORD
	v_mul_f16_sdwa v27, v31, v22 dst_sel:DWORD dst_unused:UNUSED_PAD src0_sel:WORD_1 src1_sel:DWORD
	v_fmac_f16_e32 v21, v34, v16
	v_fma_f16 v15, v32, v15, -v20
	v_pack_b32_f16 v10, v18, v10
	v_fmac_f16_e32 v24, v32, v2
	v_fma_f16 v2, v31, v22, -v26
	v_fmac_f16_e32 v27, v31, v3
	v_pack_b32_f16 v3, v17, v19
	v_pack_b32_f16 v14, v21, v14
	;; [unrolled: 1-line block ×4, first 2 shown]
	ds_write2_b32 v33, v4, v6 offset1:99
	ds_write2_b32 v5, v7, v9 offset0:70 offset1:169
	ds_write2_b32 v1, v3, v10 offset0:140 offset1:239
	;; [unrolled: 1-line block ×3, first 2 shown]
	ds_write_b32 v33, v2 offset:3168
	s_waitcnt lgkmcnt(0)
	s_barrier
	buffer_gl0_inv
	ds_read2_b32 v[2:3], v33 offset1:99
	ds_read2_b32 v[4:5], v5 offset0:70 offset1:169
	ds_read_b32 v14, v33 offset:3168
	ds_read2_b32 v[6:7], v0 offset0:82 offset1:181
	ds_read2_b32 v[9:10], v1 offset0:140 offset1:239
	v_mul_lo_u16 v15, v13, 9
	s_waitcnt lgkmcnt(0)
	s_barrier
	buffer_gl0_inv
	v_and_b32_e32 v15, 0xffff, v15
	v_lshl_add_u32 v45, v15, 2, v42
	v_lshrrev_b32_e32 v17, 16, v2
	v_pk_add_f16 v13, v3, v14
	v_pk_add_f16 v15, v4, v7
	v_pk_add_f16 v16, v5, v6
	v_pk_add_f16 v4, v4, v7 neg_lo:[0,1] neg_hi:[0,1]
	v_pk_add_f16 v5, v5, v6 neg_lo:[0,1] neg_hi:[0,1]
	;; [unrolled: 1-line block ×3, first 2 shown]
	v_pk_add_f16 v7, v9, v10
	v_pk_add_f16 v3, v3, v14 neg_lo:[0,1] neg_hi:[0,1]
	v_pk_add_f16 v20, v15, v13
	v_lshrrev_b32_e32 v14, 16, v13
	v_pk_mul_f16 v43, 0xb924, v6 op_sel_hi:[0,1]
	v_pk_fma_f16 v44, 0x3a21, v7, v2 op_sel_hi:[0,1,1]
	v_fmamk_f16 v18, v13, 0x3a21, v2
	v_lshrrev_b32_e32 v19, 16, v15
	v_lshrrev_b32_e32 v26, 16, v3
	;; [unrolled: 1-line block ×3, first 2 shown]
	v_mul_f16_e32 v46, 0x3be1, v6
	v_mul_f16_e32 v24, 0x3924, v3
	v_fmamk_f16 v21, v15, 0x3a21, v2
	v_pk_add_f16 v48, v6, v3
	v_pk_add_f16 v50, v16, v20
	v_pk_fma_f16 v43, 0x3be1, v3, v43 op_sel_hi:[0,1,1]
	v_pk_fma_f16 v44, 0x318f, v13, v44 op_sel_hi:[0,1,1]
	v_pk_mul_f16 v22, 0x3aee, v5 op_sel_hi:[0,1]
	v_lshrrev_b32_e32 v27, 16, v4
	v_pk_mul_f16 v29, v16, 0.5 op_sel_hi:[1,0]
	v_lshrrev_b32_e32 v30, 16, v7
	v_fmamk_f16 v49, v14, 0x3a21, v17
	v_fmac_f16_e32 v18, 0x318f, v15
	v_fmac_f16_e32 v17, 0x3a21, v19
	v_mul_f16_e32 v51, 0x3924, v26
	v_mul_f16_e32 v52, 0x3be1, v28
	v_fma_f16 v46, v4, 0xb924, -v46
	v_fmac_f16_e32 v24, 0x3be1, v4
	v_pk_add_f16 v47, v16, v2
	v_fmac_f16_e32 v21, 0x318f, v7
	v_pk_add_f16 v48, v48, v4 neg_lo:[0,1] neg_hi:[0,1]
	v_pk_add_f16 v20, v7, v20
	v_pk_add_f16 v9, v9, v50
	v_pk_fma_f16 v5, 0x3aee, v5, v43 op_sel_hi:[0,1,1] neg_lo:[0,1,0] neg_hi:[0,1,0]
	v_pk_fma_f16 v16, v16, 0.5, v44 op_sel_hi:[1,0,1] neg_lo:[1,0,0] neg_hi:[1,0,0]
	v_fmac_f16_e32 v49, 0x318f, v19
	v_fmac_f16_e32 v51, 0x3be1, v27
	v_sub_f16_e32 v18, v18, v29
	v_fma_f16 v19, v27, 0xb924, -v52
	v_add_f16_e32 v27, v22, v46
	v_fmac_f16_e32 v17, 0x318f, v30
	v_add_f16_e32 v53, v22, v24
	v_sub_f16_e32 v21, v21, v29
	v_pk_mul_f16 v43, 0x3aee, v48 op_sel_hi:[0,1]
	v_pk_fma_f16 v20, v20, 0.5, v47 op_sel_hi:[1,0,1] neg_lo:[1,0,0] neg_hi:[1,0,0]
	v_pk_add_f16 v9, v10, v9
	v_pk_fma_f16 v4, 0x3579, v4, v5 op_sel_hi:[0,1,1]
	v_pk_fma_f16 v5, 0xbb84, v15, v16 op_sel_hi:[0,1,1]
	v_fmac_f16_e32 v18, 0xbb84, v7
	v_add_f16_sdwa v7, v22, v19 dst_sel:DWORD dst_unused:UNUSED_PAD src0_sel:WORD_1 src1_sel:DWORD
	v_fmac_f16_e32 v27, 0x3579, v3
	v_sub_f16_sdwa v3, v17, v29 dst_sel:DWORD dst_unused:UNUSED_PAD src0_sel:DWORD src1_sel:WORD_1
	v_add_f16_sdwa v10, v22, v51 dst_sel:DWORD dst_unused:UNUSED_PAD src0_sel:WORD_1 src1_sel:DWORD
	v_fmac_f16_e32 v53, 0x3579, v6
	v_sub_f16_sdwa v6, v49, v29 dst_sel:DWORD dst_unused:UNUSED_PAD src0_sel:DWORD src1_sel:WORD_1
	v_fmac_f16_e32 v21, 0xbb84, v13
	v_pk_add_f16 v19, v20, v43 op_sel:[0,1] op_sel_hi:[1,0] neg_lo:[0,1] neg_hi:[0,1]
	v_pk_add_f16 v13, v9, v2
	v_pk_add_f16 v2, v5, v4 op_sel:[0,1] op_sel_hi:[1,0] neg_lo:[0,1] neg_hi:[0,1]
	v_pk_add_f16 v16, v20, v43 op_sel:[0,1] op_sel_hi:[1,0]
	v_fmac_f16_e32 v7, 0x3579, v26
	v_fmac_f16_e32 v3, 0xbb84, v14
	;; [unrolled: 1-line block ×4, first 2 shown]
	v_pk_add_f16 v15, v5, v4 op_sel:[0,1] op_sel_hi:[1,0]
	v_lshrrev_b32_e32 v24, 16, v19
	v_lshrrev_b32_e32 v54, 16, v2
	;; [unrolled: 1-line block ×3, first 2 shown]
	v_bfi_b32 v9, 0xffff, v16, v19
	v_mov_b32_e32 v17, v16
	v_add_f16_e32 v19, v7, v21
	v_sub_f16_e32 v50, v3, v27
	v_add_f16_e32 v14, v10, v18
	v_sub_f16_e32 v49, v6, v53
	v_lshrrev_b32_e32 v5, 16, v4
	v_mov_b32_e32 v18, v15
	v_mov_b32_e32 v58, v24
	;; [unrolled: 1-line block ×3, first 2 shown]
	v_fmac_f16_e32 v17, -2.0, v20
	v_fma_f16 v20, -2.0, v7, v19
	v_fma_f16 v60, 2.0, v27, v50
	v_fma_f16 v21, -2.0, v10, v14
	v_fma_f16 v48, 2.0, v53, v49
	v_fmac_f16_e32 v18, -2.0, v5
	v_fmac_f16_e32 v58, 2.0, v43
	v_fmac_f16_e32 v59, 2.0, v4
	v_bfi_b32 v6, 0xffff, v15, v2
	v_pack_b32_f16 v2, v14, v49
	v_pack_b32_f16 v3, v19, v50
	;; [unrolled: 1-line block ×6, first 2 shown]
	ds_write2_b32 v45, v6, v9 offset0:2 offset1:3
	ds_write2_b32 v45, v13, v2 offset1:1
	ds_write2_b32 v45, v3, v4 offset0:4 offset1:5
	ds_write_b32 v45, v7 offset:32
	ds_write2_b32 v45, v5, v10 offset0:6 offset1:7
	s_waitcnt lgkmcnt(0)
	s_barrier
	buffer_gl0_inv
	s_and_saveexec_b32 s0, vcc_lo
	s_cbranch_execz .LBB0_3
; %bb.2:
	v_add_nc_u32_e32 v2, 0x600, v33
	ds_read2_b32 v[13:14], v33 offset1:81
	ds_read2_b32 v[15:16], v33 offset0:162 offset1:243
	ds_read2_b32 v[19:20], v1 offset0:68 offset1:149
	;; [unrolled: 1-line block ×4, first 2 shown]
	ds_read_b32 v61, v33 offset:3240
	s_waitcnt lgkmcnt(5)
	v_lshrrev_b32_e32 v49, 16, v14
	s_waitcnt lgkmcnt(4)
	v_lshrrev_b32_e32 v54, 16, v15
	v_lshrrev_b32_e32 v24, 16, v16
	s_waitcnt lgkmcnt(3)
	v_lshrrev_b32_e32 v50, 16, v19
	;; [unrolled: 3-line block ×5, first 2 shown]
.LBB0_3:
	s_or_b32 exec_lo, exec_lo, s0
	v_and_b32_e32 v0, 0xff, v39
	v_mov_b32_e32 v1, 10
	v_mul_lo_u16 v0, v0, 57
	v_lshrrev_b16 v44, 9, v0
	v_mul_lo_u16 v0, v44, 9
	v_sub_nc_u16 v43, v39, v0
	v_mul_u32_u24_sdwa v0, v43, v1 dst_sel:DWORD dst_unused:UNUSED_PAD src0_sel:BYTE_0 src1_sel:DWORD
	v_lshlrev_b32_e32 v9, 2, v0
	s_clause 0x2
	global_load_dwordx4 v[4:7], v9, s[2:3]
	global_load_dwordx4 v[0:3], v9, s[2:3] offset:16
	global_load_dwordx2 v[9:10], v9, s[2:3] offset:32
	s_waitcnt vmcnt(0)
	s_barrier
	buffer_gl0_inv
	v_mul_f16_sdwa v55, v49, v4 dst_sel:DWORD dst_unused:UNUSED_PAD src0_sel:DWORD src1_sel:WORD_1
	v_mul_f16_sdwa v53, v14, v4 dst_sel:DWORD dst_unused:UNUSED_PAD src0_sel:DWORD src1_sel:WORD_1
	;; [unrolled: 1-line block ×10, first 2 shown]
	v_fma_f16 v57, v14, v4, -v55
	v_fmac_f16_e32 v53, v49, v4
	v_fma_f16 v14, v61, v10, -v71
	v_fmac_f16_e32 v27, v63, v10
	v_mul_f16_sdwa v64, v24, v6 dst_sel:DWORD dst_unused:UNUSED_PAD src0_sel:DWORD src1_sel:WORD_1
	v_mul_f16_sdwa v51, v16, v6 dst_sel:DWORD dst_unused:UNUSED_PAD src0_sel:DWORD src1_sel:WORD_1
	;; [unrolled: 1-line block ×6, first 2 shown]
	v_fma_f16 v56, v15, v5, -v56
	v_fmac_f16_e32 v52, v54, v5
	v_fma_f16 v54, v19, v7, -v65
	v_fma_f16 v19, v17, v1, -v67
	;; [unrolled: 1-line block ×3, first 2 shown]
	v_fmac_f16_e32 v26, v62, v9
	v_sub_f16_e32 v67, v57, v14
	v_sub_f16_e32 v86, v53, v27
	v_mul_f16_sdwa v30, v17, v1 dst_sel:DWORD dst_unused:UNUSED_PAD src0_sel:DWORD src1_sel:WORD_1
	v_mul_f16_sdwa v29, v18, v2 dst_sel:DWORD dst_unused:UNUSED_PAD src0_sel:DWORD src1_sel:WORD_1
	v_fma_f16 v55, v16, v6, -v64
	v_fmac_f16_e32 v51, v24, v6
	v_fma_f16 v17, v18, v2, -v68
	v_fma_f16 v16, v21, v3, -v69
	v_fmac_f16_e32 v28, v48, v3
	v_add_f16_e32 v18, v57, v14
	v_add_f16_e32 v92, v53, v27
	v_sub_f16_e32 v71, v56, v15
	v_sub_f16_e32 v89, v52, v26
	v_mul_f16_e32 v64, 0xb853, v86
	v_mul_f16_e32 v69, 0xb853, v67
	v_mul_f16_e32 v79, 0xbb47, v86
	v_mul_f16_e32 v84, 0xbb47, v67
	v_mul_f16_sdwa v66, v60, v0 dst_sel:DWORD dst_unused:UNUSED_PAD src0_sel:DWORD src1_sel:WORD_1
	v_mul_f16_sdwa v46, v20, v0 dst_sel:DWORD dst_unused:UNUSED_PAD src0_sel:DWORD src1_sel:WORD_1
	v_fmac_f16_e32 v47, v50, v7
	v_fmac_f16_e32 v29, v59, v2
	v_add_f16_e32 v21, v56, v15
	v_add_f16_e32 v85, v52, v26
	v_sub_f16_e32 v91, v51, v28
	v_sub_f16_e32 v76, v55, v16
	v_mul_f16_e32 v63, 0xbb47, v89
	v_mul_f16_e32 v68, 0xbb47, v71
	;; [unrolled: 1-line block ×4, first 2 shown]
	v_fmamk_f16 v24, v18, 0x3abb, v64
	v_fma_f16 v48, v92, 0x3abb, -v69
	v_fmamk_f16 v50, v18, 0x36a6, v79
	v_fma_f16 v96, v92, 0x36a6, -v84
	v_fma_f16 v20, v20, v0, -v66
	v_fmac_f16_e32 v46, v60, v0
	v_fmac_f16_e32 v30, v58, v1
	v_add_f16_e32 v61, v55, v16
	v_add_f16_e32 v90, v51, v28
	v_sub_f16_e32 v93, v47, v29
	v_sub_f16_e32 v77, v54, v17
	v_mul_f16_e32 v62, 0xbbeb, v91
	v_mul_f16_e32 v66, 0xbbeb, v76
	;; [unrolled: 1-line block ×4, first 2 shown]
	v_fmamk_f16 v49, v21, 0x36a6, v63
	v_fma_f16 v95, v85, 0x36a6, -v68
	v_fmamk_f16 v97, v21, 0xb93d, v78
	v_fma_f16 v98, v85, 0xb93d, -v83
	v_add_f16_e32 v24, v13, v24
	v_add_f16_sdwa v48, v13, v48 dst_sel:DWORD dst_unused:UNUSED_PAD src0_sel:WORD_1 src1_sel:DWORD
	v_add_f16_sdwa v96, v13, v96 dst_sel:DWORD dst_unused:UNUSED_PAD src0_sel:WORD_1 src1_sel:DWORD
	v_add_f16_e32 v50, v13, v50
	v_add_f16_e32 v74, v54, v17
	;; [unrolled: 1-line block ×3, first 2 shown]
	v_sub_f16_e32 v94, v46, v30
	v_sub_f16_e32 v80, v20, v19
	v_mul_f16_e32 v60, 0xba0c, v93
	v_mul_f16_e32 v65, 0xba0c, v77
	;; [unrolled: 1-line block ×4, first 2 shown]
	v_fmamk_f16 v99, v61, 0xb08e, v62
	v_fma_f16 v100, v90, 0xb08e, -v66
	v_fmamk_f16 v101, v61, 0xbbad, v72
	v_fma_f16 v102, v90, 0xbbad, -v82
	v_add_f16_e32 v24, v49, v24
	v_add_f16_e32 v48, v95, v48
	;; [unrolled: 1-line block ×6, first 2 shown]
	v_mul_f16_e32 v22, 0xb482, v94
	v_mul_f16_e32 v59, 0xb482, v80
	;; [unrolled: 1-line block ×4, first 2 shown]
	v_fmamk_f16 v103, v74, 0xb93d, v60
	v_fma_f16 v104, v87, 0xb93d, -v65
	v_fmamk_f16 v105, v74, 0xb08e, v70
	v_fma_f16 v106, v87, 0xb08e, -v81
	v_add_f16_e32 v24, v99, v24
	v_add_f16_e32 v48, v100, v48
	;; [unrolled: 1-line block ×4, first 2 shown]
	v_fmamk_f16 v107, v75, 0xbbad, v22
	v_fma_f16 v108, v88, 0xbbad, -v59
	v_fma_f16 v95, v88, 0x3abb, -v73
	v_fmamk_f16 v96, v75, 0x3abb, v58
	v_add_f16_e32 v24, v103, v24
	v_add_f16_e32 v48, v104, v48
	;; [unrolled: 1-line block ×8, first 2 shown]
	s_and_saveexec_b32 s0, vcc_lo
	s_cbranch_execz .LBB0_5
; %bb.4:
	v_mul_f16_e32 v95, 0xb08e, v92
	v_mul_f16_e32 v99, 0xbbad, v85
	;; [unrolled: 1-line block ×5, first 2 shown]
	v_fmamk_f16 v100, v67, 0x3beb, v95
	v_fmamk_f16 v104, v71, 0xb482, v99
	;; [unrolled: 1-line block ×4, first 2 shown]
	v_mul_f16_e32 v109, 0x3482, v89
	v_add_f16_sdwa v100, v13, v100 dst_sel:DWORD dst_unused:UNUSED_PAD src0_sel:WORD_1 src1_sel:DWORD
	v_fmamk_f16 v110, v18, 0xb08e, v107
	v_mul_f16_e32 v115, 0xb08e, v85
	v_mul_f16_e32 v118, 0x3abb, v90
	v_fmamk_f16 v112, v21, 0xbbad, v109
	v_add_f16_e32 v100, v104, v100
	v_mul_f16_e32 v104, 0xb93d, v88
	v_add_f16_e32 v110, v13, v110
	v_fmamk_f16 v117, v71, 0xbbeb, v115
	v_mul_f16_e32 v116, 0xba0c, v94
	v_add_f16_e32 v100, v108, v100
	v_fmamk_f16 v113, v80, 0x3a0c, v104
	v_mul_f16_e32 v108, 0x3b47, v91
	v_add_f16_e32 v110, v112, v110
	v_mul_f16_e32 v112, 0xb853, v93
	v_add_f16_e32 v100, v111, v100
	v_mul_f16_e32 v111, 0xb93d, v92
	v_fmamk_f16 v114, v61, 0x36a6, v108
	v_mul_f16_e32 v120, 0xbbad, v87
	v_mul_f16_e32 v119, 0xba0c, v86
	v_add_f16_e32 v100, v113, v100
	v_fmamk_f16 v113, v67, 0x3a0c, v111
	v_add_f16_e32 v110, v114, v110
	v_fmamk_f16 v114, v74, 0x3abb, v112
	v_mul_f16_e32 v122, 0x36a6, v88
	v_mul_f16_e32 v97, 0x3abb, v92
	v_add_f16_sdwa v113, v13, v113 dst_sel:DWORD dst_unused:UNUSED_PAD src0_sel:WORD_1 src1_sel:DWORD
	v_mul_f16_e32 v101, 0x36a6, v92
	v_add_f16_e32 v110, v114, v110
	v_fmamk_f16 v114, v75, 0xb93d, v116
	v_mul_f16_e32 v121, 0x3beb, v89
	v_add_f16_e32 v113, v117, v113
	v_fmamk_f16 v117, v76, 0x3853, v118
	;; [unrolled: 3-line block ×3, first 2 shown]
	v_fmamk_f16 v123, v21, 0xb08e, v121
	v_add_f16_e32 v113, v117, v113
	v_fmamk_f16 v117, v77, 0x3482, v120
	v_mul_f16_e32 v124, 0xb853, v91
	v_add_f16_e32 v114, v13, v114
	v_mul_f16_e32 v126, 0x3abb, v85
	v_mul_f16_e32 v125, 0xb482, v93
	v_add_f16_e32 v113, v117, v113
	v_fmamk_f16 v117, v80, 0xbb47, v122
	v_add_f16_e32 v114, v123, v114
	v_fmamk_f16 v123, v61, 0x3abb, v124
	v_fmamk_f16 v128, v71, 0xb853, v126
	v_mul_f16_e32 v129, 0xb93d, v90
	v_add_f16_e32 v113, v117, v113
	v_fmamk_f16 v117, v67, 0x3482, v92
	v_mul_f16_e32 v86, 0xb482, v86
	v_add_f16_e32 v114, v123, v114
	v_fmamk_f16 v123, v74, 0xbbad, v125
	v_mul_f16_e32 v127, 0x3b47, v94
	v_add_f16_sdwa v117, v13, v117 dst_sel:DWORD dst_unused:UNUSED_PAD src0_sel:WORD_1 src1_sel:DWORD
	v_fmamk_f16 v131, v18, 0xbbad, v86
	v_mul_f16_e32 v89, 0x3853, v89
	v_fma_f16 v86, v18, 0xbbad, -v86
	v_add_f16_e32 v114, v123, v114
	v_add_f16_e32 v117, v128, v117
	v_fmamk_f16 v128, v76, 0x3a0c, v129
	v_fmamk_f16 v123, v75, 0x36a6, v127
	v_mul_f16_e32 v130, 0x36a6, v87
	v_mul_f16_e32 v91, 0xba0c, v91
	v_fmac_f16_e32 v92, 0xb482, v67
	v_add_f16_e32 v117, v128, v117
	v_add_f16_e32 v128, v13, v131
	v_fmamk_f16 v131, v21, 0x3abb, v89
	v_add_f16_e32 v86, v13, v86
	v_fma_f16 v89, v21, 0x3abb, -v89
	v_add_f16_e32 v57, v13, v57
	v_add_f16_sdwa v53, v13, v53 dst_sel:DWORD dst_unused:UNUSED_PAD src0_sel:WORD_1 src1_sel:DWORD
	v_add_f16_e32 v114, v123, v114
	v_fmamk_f16 v123, v77, 0xbb47, v130
	v_add_f16_e32 v128, v131, v128
	v_fmamk_f16 v131, v61, 0xb93d, v91
	v_add_f16_sdwa v92, v13, v92 dst_sel:DWORD dst_unused:UNUSED_PAD src0_sel:WORD_1 src1_sel:DWORD
	v_fmac_f16_e32 v126, 0x3853, v71
	v_mul_f16_e32 v93, 0x3b47, v93
	v_add_f16_e32 v86, v89, v86
	v_fma_f16 v91, v61, 0xb93d, -v91
	v_add_f16_e32 v56, v57, v56
	v_add_f16_e32 v52, v53, v52
	v_mul_f16_e32 v96, 0x3abb, v18
	v_mul_f16_e32 v98, 0x36a6, v18
	;; [unrolled: 1-line block ×3, first 2 shown]
	v_add_f16_e32 v117, v123, v117
	v_mul_f16_e32 v123, 0xb08e, v88
	v_add_f16_e32 v128, v131, v128
	v_add_f16_e32 v92, v126, v92
	v_fmamk_f16 v126, v74, 0x36a6, v93
	v_mul_f16_e32 v94, 0xbbeb, v94
	v_mul_f16_e32 v85, 0xb93d, v85
	v_fmac_f16_e32 v129, 0xba0c, v76
	v_fmac_f16_e32 v118, 0xb853, v76
	v_add_f16_e32 v86, v91, v86
	v_fma_f16 v91, v18, 0xb93d, -v119
	v_fmac_f16_e32 v103, 0x3b47, v76
	v_fma_f16 v18, v18, 0xb08e, -v107
	v_add_f16_e32 v76, v84, v101
	v_add_f16_e32 v55, v56, v55
	;; [unrolled: 1-line block ×3, first 2 shown]
	v_mul_f16_e32 v102, 0x36a6, v21
	v_mul_f16_e32 v132, 0xb93d, v21
	v_fmamk_f16 v131, v80, 0x3beb, v123
	v_add_f16_e32 v126, v126, v128
	v_fmamk_f16 v128, v75, 0xb08e, v94
	v_add_f16_e32 v92, v129, v92
	v_mul_f16_e32 v129, 0xb08e, v90
	v_fmac_f16_e32 v130, 0x3b47, v77
	v_mul_f16_e32 v90, 0xbbad, v90
	v_add_f16_e32 v91, v13, v91
	v_fma_f16 v121, v21, 0xb08e, -v121
	v_fmac_f16_e32 v120, 0xb482, v77
	v_fmac_f16_e32 v106, 0xb853, v77
	v_add_f16_e32 v18, v13, v18
	v_fma_f16 v21, v21, 0xbbad, -v109
	v_add_f16_sdwa v76, v13, v76 dst_sel:DWORD dst_unused:UNUSED_PAD src0_sel:WORD_1 src1_sel:DWORD
	v_add_f16_e32 v77, v83, v85
	v_add_f16_e32 v54, v55, v54
	;; [unrolled: 1-line block ×4, first 2 shown]
	v_mul_f16_e32 v131, 0xb08e, v61
	v_add_f16_e32 v126, v128, v126
	v_mul_f16_e32 v128, 0xbbad, v61
	v_add_f16_e32 v92, v130, v92
	v_fmac_f16_e32 v123, 0xbbeb, v80
	v_fmac_f16_e32 v111, 0xba0c, v67
	;; [unrolled: 1-line block ×3, first 2 shown]
	v_add_f16_e32 v67, v121, v91
	v_fma_f16 v91, v61, 0x3abb, -v124
	v_add_f16_e32 v18, v21, v18
	v_fma_f16 v21, v61, 0x36a6, -v108
	v_add_f16_e32 v61, v77, v76
	v_add_f16_e32 v76, v82, v90
	v_sub_f16_e32 v79, v98, v79
	v_add_f16_e32 v69, v69, v97
	v_sub_f16_e32 v64, v96, v64
	v_add_f16_e32 v20, v54, v20
	v_add_f16_e32 v46, v47, v46
	;; [unrolled: 1-line block ×3, first 2 shown]
	v_mul_f16_e32 v123, 0xb93d, v87
	v_add_f16_sdwa v111, v13, v111 dst_sel:DWORD dst_unused:UNUSED_PAD src0_sel:WORD_1 src1_sel:DWORD
	v_mul_f16_e32 v87, 0xb08e, v87
	v_add_f16_sdwa v95, v13, v95 dst_sel:DWORD dst_unused:UNUSED_PAD src0_sel:WORD_1 src1_sel:DWORD
	v_add_f16_e32 v61, v76, v61
	v_add_f16_e32 v76, v13, v79
	v_add_f16_sdwa v69, v13, v69 dst_sel:DWORD dst_unused:UNUSED_PAD src0_sel:WORD_1 src1_sel:DWORD
	v_add_f16_e32 v56, v68, v105
	v_add_f16_e32 v13, v13, v64
	v_sub_f16_e32 v54, v102, v63
	v_add_f16_e32 v19, v20, v19
	v_add_f16_e32 v20, v46, v30
	v_mul_f16_e32 v130, 0xb93d, v74
	v_fmac_f16_e32 v115, 0x3beb, v71
	v_mul_f16_e32 v89, 0xb08e, v74
	v_fma_f16 v93, v74, 0x36a6, -v93
	v_fmac_f16_e32 v99, 0x3482, v71
	v_fma_f16 v71, v74, 0xbbad, -v125
	v_add_f16_e32 v18, v21, v18
	v_fma_f16 v21, v74, 0x3abb, -v112
	v_add_f16_e32 v74, v81, v87
	v_sub_f16_e32 v78, v132, v78
	v_add_f16_e32 v55, v56, v69
	v_add_f16_e32 v51, v66, v129
	v_add_f16_e32 v13, v54, v13
	v_sub_f16_e32 v30, v131, v62
	v_add_f16_e32 v17, v19, v17
	v_add_f16_e32 v20, v20, v29
	;; [unrolled: 1-line block ×3, first 2 shown]
	v_mul_f16_e32 v115, 0xbbad, v75
	v_mul_f16_e32 v119, 0xbbad, v88
	v_add_f16_e32 v67, v91, v67
	v_fma_f16 v91, v75, 0xb08e, -v94
	v_add_f16_e32 v94, v99, v95
	v_add_f16_e32 v61, v74, v61
	;; [unrolled: 1-line block ×3, first 2 shown]
	v_sub_f16_e32 v72, v128, v72
	v_add_f16_e32 v47, v51, v55
	v_add_f16_e32 v51, v65, v123
	;; [unrolled: 1-line block ×3, first 2 shown]
	v_sub_f16_e32 v29, v130, v60
	v_add_f16_e32 v16, v17, v16
	v_mov_b32_e32 v17, 0x63
	v_add_f16_e32 v20, v20, v28
	v_add_f16_e32 v111, v118, v111
	v_mul_f16_e32 v118, 0x3abb, v75
	v_mul_f16_e32 v88, 0x3abb, v88
	v_add_f16_e32 v84, v103, v94
	v_add_f16_e32 v53, v72, v74
	v_sub_f16_e32 v52, v89, v70
	v_add_f16_e32 v19, v51, v47
	v_add_f16_e32 v28, v59, v119
	;; [unrolled: 1-line block ×4, first 2 shown]
	v_mul_u32_u24_sdwa v16, v44, v17 dst_sel:DWORD dst_unused:UNUSED_PAD src0_sel:WORD_0 src1_sel:DWORD
	v_add_f16_e32 v17, v20, v26
	v_sub_f16_e32 v20, v115, v22
	v_add_f16_e32 v83, v106, v84
	v_fmac_f16_e32 v104, 0xba0c, v80
	v_add_f16_e32 v18, v21, v18
	v_fma_f16 v21, v75, 0xb93d, -v116
	v_add_f16_e32 v57, v73, v88
	v_add_f16_e32 v46, v52, v53
	;; [unrolled: 1-line block ×4, first 2 shown]
	v_add_nc_u32_sdwa v15, v16, v43 dst_sel:DWORD dst_unused:UNUSED_PAD src0_sel:DWORD src1_sel:BYTE_0
	v_add_f16_e32 v16, v17, v27
	v_add_f16_e32 v13, v20, v13
	v_sub_f16_e32 v17, v118, v58
	v_add_f16_e32 v86, v93, v86
	v_add_f16_e32 v93, v120, v111
	v_fmac_f16_e32 v122, 0x3b47, v80
	v_add_f16_e32 v67, v71, v67
	v_fma_f16 v71, v75, 0x36a6, -v127
	v_add_f16_e32 v77, v104, v83
	v_add_f16_e32 v20, v57, v61
	v_lshl_add_u32 v15, v15, 2, v42
	v_pack_b32_f16 v14, v14, v16
	v_pack_b32_f16 v13, v13, v19
	v_add_f16_e32 v16, v17, v46
	v_add_f16_e32 v17, v21, v18
	;; [unrolled: 1-line block ×5, first 2 shown]
	ds_write2_b32 v15, v14, v13 offset1:9
	v_pack_b32_f16 v13, v16, v20
	v_pack_b32_f16 v14, v17, v77
	;; [unrolled: 1-line block ×7, first 2 shown]
	v_perm_b32 v21, v48, v24, 0x5040100
	v_perm_b32 v22, v50, v49, 0x5040100
	ds_write2_b32 v15, v13, v14 offset0:18 offset1:27
	ds_write2_b32 v15, v16, v17 offset0:36 offset1:45
	;; [unrolled: 1-line block ×4, first 2 shown]
	ds_write_b32 v15, v22 offset:360
.LBB0_5:
	s_or_b32 exec_lo, exec_lo, s0
	v_add_co_u32 v30, null, 0xc6, v39
	v_mov_b32_e32 v15, 0xa57f
	v_lshlrev_b32_e32 v29, 3, v39
	s_waitcnt lgkmcnt(0)
	s_barrier
	buffer_gl0_inv
	v_mul_u32_u24_sdwa v15, v30, v15 dst_sel:DWORD dst_unused:UNUSED_PAD src0_sel:WORD_0 src1_sel:DWORD
	global_load_dwordx2 v[13:14], v29, s[2:3] offset:360
	v_add_nc_u32_e32 v26, 0x200, v33
	v_add_nc_u32_e32 v51, 0x800, v33
	;; [unrolled: 1-line block ×3, first 2 shown]
	v_lshrrev_b32_e32 v15, 22, v15
	ds_read2_b32 v[17:18], v33 offset1:99
	v_add_nc_u32_e32 v53, 0x318, v29
	v_mul_lo_u16 v15, 0x63, v15
	v_sub_nc_u16 v46, v30, v15
	v_lshlrev_b16 v15, 3, v46
	v_and_b32_e32 v46, 0xffff, v46
	v_and_b32_e32 v15, 0xffff, v15
	s_waitcnt lgkmcnt(0)
	v_lshrrev_b32_e32 v54, 16, v17
	v_lshrrev_b32_e32 v55, 16, v18
	v_lshl_add_u32 v46, v46, 2, v42
	v_add_co_u32 v15, s0, s2, v15
	v_add_co_ci_u32_e64 v16, null, s3, 0, s0
	v_add_nc_u32_e32 v63, 0x800, v46
	global_load_dwordx2 v[15:16], v[15:16], off offset:360
	ds_read_b32 v47, v33 offset:3168
	ds_read2_b32 v[19:20], v26 offset0:70 offset1:169
	ds_read2_b32 v[21:22], v51 offset0:82 offset1:181
	;; [unrolled: 1-line block ×3, first 2 shown]
	s_waitcnt vmcnt(0) lgkmcnt(0)
	s_barrier
	buffer_gl0_inv
	v_lshrrev_b32_e32 v56, 16, v47
	v_lshrrev_b32_e32 v57, 16, v20
	;; [unrolled: 1-line block ×7, first 2 shown]
	v_mul_f16_sdwa v64, v57, v13 dst_sel:DWORD dst_unused:UNUSED_PAD src0_sel:DWORD src1_sel:WORD_1
	v_mul_f16_sdwa v65, v20, v13 dst_sel:DWORD dst_unused:UNUSED_PAD src0_sel:DWORD src1_sel:WORD_1
	;; [unrolled: 1-line block ×8, first 2 shown]
	v_fma_f16 v20, v20, v13, -v64
	v_fmac_f16_e32 v65, v57, v13
	v_fmac_f16_e32 v69, v59, v13
	;; [unrolled: 1-line block ×3, first 2 shown]
	v_fma_f16 v21, v21, v14, -v66
	v_fmac_f16_e32 v67, v58, v14
	v_fma_f16 v27, v27, v13, -v68
	v_fma_f16 v22, v22, v14, -v70
	v_add_f16_e32 v57, v17, v20
	v_add_f16_e32 v60, v54, v65
	v_sub_f16_e32 v68, v69, v71
	v_add_f16_e32 v70, v55, v69
	v_add_f16_e32 v69, v69, v71
	;; [unrolled: 1-line block ×3, first 2 shown]
	v_sub_f16_e32 v59, v65, v67
	v_add_f16_e32 v64, v65, v67
	v_sub_f16_e32 v20, v20, v21
	v_add_f16_e32 v65, v18, v27
	v_add_f16_e32 v66, v27, v22
	v_sub_f16_e32 v27, v27, v22
	v_add_f16_e32 v21, v57, v21
	v_add_f16_e32 v57, v60, v67
	v_fmac_f16_e32 v55, -0.5, v69
	v_fma_f16 v17, -0.5, v58, v17
	v_fmac_f16_e32 v54, -0.5, v64
	v_add_f16_e32 v22, v65, v22
	v_fmac_f16_e32 v18, -0.5, v66
	v_fmamk_f16 v64, v27, 0xbaee, v55
	v_fmac_f16_e32 v55, 0x3aee, v27
	v_pack_b32_f16 v21, v21, v57
	v_mul_f16_sdwa v27, v62, v15 dst_sel:DWORD dst_unused:UNUSED_PAD src0_sel:DWORD src1_sel:WORD_1
	v_mul_f16_sdwa v57, v56, v16 dst_sel:DWORD dst_unused:UNUSED_PAD src0_sel:DWORD src1_sel:WORD_1
	;; [unrolled: 1-line block ×4, first 2 shown]
	v_fmamk_f16 v60, v59, 0x3aee, v17
	v_fmac_f16_e32 v17, 0xbaee, v59
	v_fmamk_f16 v59, v20, 0xbaee, v54
	v_fmac_f16_e32 v54, 0x3aee, v20
	v_fma_f16 v27, v28, v15, -v27
	v_fma_f16 v28, v47, v16, -v57
	v_fmac_f16_e32 v65, v62, v15
	v_fmac_f16_e32 v66, v56, v16
	v_add_f16_e32 v58, v70, v71
	v_pack_b32_f16 v17, v17, v54
	v_add_f16_e32 v54, v27, v28
	v_pack_b32_f16 v47, v60, v59
	;; [unrolled: 2-line block ×3, first 2 shown]
	v_add_f16_e32 v56, v19, v27
	v_sub_f16_e32 v58, v65, v66
	v_add_f16_e32 v59, v61, v65
	v_fmac_f16_e32 v19, -0.5, v54
	v_sub_f16_e32 v27, v27, v28
	v_fmac_f16_e32 v61, -0.5, v57
	v_fmamk_f16 v20, v68, 0x3aee, v18
	v_fmac_f16_e32 v18, 0xbaee, v68
	v_add_f16_e32 v28, v56, v28
	v_add_f16_e32 v54, v59, v66
	v_fmamk_f16 v56, v58, 0x3aee, v19
	v_fmamk_f16 v57, v27, 0xbaee, v61
	v_fmac_f16_e32 v19, 0xbaee, v58
	v_fmac_f16_e32 v61, 0x3aee, v27
	v_pack_b32_f16 v20, v20, v64
	v_pack_b32_f16 v18, v18, v55
	;; [unrolled: 1-line block ×5, first 2 shown]
	ds_write2_b32 v33, v21, v47 offset1:99
	ds_write2_b32 v26, v17, v22 offset0:70 offset1:169
	ds_write2_b32 v52, v20, v18 offset0:140 offset1:239
	;; [unrolled: 1-line block ×3, first 2 shown]
	ds_write_b32 v46, v19 offset:3168
	s_waitcnt lgkmcnt(0)
	s_barrier
	buffer_gl0_inv
	global_load_dwordx2 v[21:22], v29, s[2:3] offset:1152
	v_lshlrev_b32_e32 v17, 3, v30
	s_clause 0x1
	global_load_dwordx2 v[19:20], v53, s[2:3] offset:1152
	global_load_dwordx2 v[17:18], v17, s[2:3] offset:1152
	ds_read2_b32 v[27:28], v33 offset1:99
	ds_read2_b32 v[29:30], v26 offset0:70 offset1:169
	ds_read2_b32 v[53:54], v51 offset0:82 offset1:181
	;; [unrolled: 1-line block ×3, first 2 shown]
	ds_read_b32 v59, v33 offset:3168
	v_add_co_u32 v57, s0, 0xdec, v23
	v_lshl_add_u32 v47, v39, 2, v42
	v_add_co_ci_u32_e64 v58, s0, 0, v25, s0
	s_waitcnt lgkmcnt(4)
	v_lshrrev_b32_e32 v60, 16, v27
	s_waitcnt lgkmcnt(3)
	v_lshrrev_b32_e32 v61, 16, v30
	;; [unrolled: 2-line block ×4, first 2 shown]
	v_lshrrev_b32_e32 v65, 16, v54
	v_lshrrev_b32_e32 v67, 16, v56
	s_waitcnt lgkmcnt(0)
	v_lshrrev_b32_e32 v68, 16, v59
	v_lshrrev_b32_e32 v66, 16, v29
	v_lshrrev_b32_e32 v63, 16, v28
	s_waitcnt vmcnt(2)
	v_mul_f16_sdwa v69, v61, v21 dst_sel:DWORD dst_unused:UNUSED_PAD src0_sel:DWORD src1_sel:WORD_1
	v_mul_f16_sdwa v70, v30, v21 dst_sel:DWORD dst_unused:UNUSED_PAD src0_sel:DWORD src1_sel:WORD_1
	v_mul_f16_sdwa v71, v62, v22 dst_sel:DWORD dst_unused:UNUSED_PAD src0_sel:DWORD src1_sel:WORD_1
	v_mul_f16_sdwa v72, v53, v22 dst_sel:DWORD dst_unused:UNUSED_PAD src0_sel:DWORD src1_sel:WORD_1
	s_waitcnt vmcnt(1)
	v_mul_f16_sdwa v73, v64, v19 dst_sel:DWORD dst_unused:UNUSED_PAD src0_sel:DWORD src1_sel:WORD_1
	v_mul_f16_sdwa v74, v55, v19 dst_sel:DWORD dst_unused:UNUSED_PAD src0_sel:DWORD src1_sel:WORD_1
	v_mul_f16_sdwa v75, v65, v20 dst_sel:DWORD dst_unused:UNUSED_PAD src0_sel:DWORD src1_sel:WORD_1
	v_mul_f16_sdwa v76, v54, v20 dst_sel:DWORD dst_unused:UNUSED_PAD src0_sel:DWORD src1_sel:WORD_1
	;; [unrolled: 5-line block ×3, first 2 shown]
	v_fma_f16 v30, v30, v21, -v69
	v_fmac_f16_e32 v70, v61, v21
	v_fma_f16 v53, v53, v22, -v71
	v_fmac_f16_e32 v72, v62, v22
	;; [unrolled: 2-line block ×6, first 2 shown]
	v_add_f16_e32 v62, v30, v53
	v_add_f16_e32 v67, v70, v72
	;; [unrolled: 1-line block ×5, first 2 shown]
	v_sub_f16_e32 v77, v78, v80
	v_add_f16_e32 v79, v66, v78
	v_add_f16_e32 v78, v78, v80
	;; [unrolled: 1-line block ×3, first 2 shown]
	v_sub_f16_e32 v64, v70, v72
	v_add_f16_e32 v65, v60, v70
	v_sub_f16_e32 v30, v30, v53
	v_sub_f16_e32 v70, v74, v76
	v_add_f16_e32 v71, v63, v74
	v_add_f16_e32 v74, v29, v56
	v_fma_f16 v27, -0.5, v62, v27
	v_fmac_f16_e32 v60, -0.5, v67
	v_add_f16_e32 v68, v28, v55
	v_sub_f16_e32 v55, v55, v54
	v_fmac_f16_e32 v28, -0.5, v69
	v_fmac_f16_e32 v63, -0.5, v73
	v_sub_f16_e32 v56, v56, v59
	v_fmac_f16_e32 v29, -0.5, v75
	v_fmac_f16_e32 v66, -0.5, v78
	v_add_f16_e32 v53, v61, v53
	v_add_f16_e32 v61, v65, v72
	;; [unrolled: 1-line block ×4, first 2 shown]
	v_fmamk_f16 v67, v64, 0x3aee, v27
	v_fmac_f16_e32 v27, 0xbaee, v64
	v_fmamk_f16 v64, v30, 0xbaee, v60
	v_fmac_f16_e32 v60, 0x3aee, v30
	v_add_f16_e32 v54, v68, v54
	v_add_f16_e32 v62, v71, v76
	v_fmamk_f16 v30, v70, 0x3aee, v28
	v_fmamk_f16 v68, v55, 0xbaee, v63
	v_fmac_f16_e32 v28, 0xbaee, v70
	v_fmac_f16_e32 v63, 0x3aee, v55
	v_fmamk_f16 v55, v77, 0x3aee, v29
	v_fmamk_f16 v69, v56, 0xbaee, v66
	v_fmac_f16_e32 v29, 0xbaee, v77
	v_fmac_f16_e32 v66, 0x3aee, v56
	v_pack_b32_f16 v56, v59, v65
	v_pack_b32_f16 v59, v67, v64
	;; [unrolled: 1-line block ×9, first 2 shown]
	ds_write_b32 v33, v59 offset:1188
	ds_write_b32 v33, v27 offset:2376
	ds_write2_b32 v33, v53, v54 offset1:99
	ds_write_b32 v47, v30 offset:1584
	ds_write_b32 v47, v28 offset:2772
	;; [unrolled: 1-line block ×5, first 2 shown]
	s_waitcnt lgkmcnt(0)
	s_barrier
	buffer_gl0_inv
	global_load_dword v55, v[11:12], off offset:1516
	v_add_co_u32 v11, s0, 0x1000, v23
	v_add_co_ci_u32_e64 v12, s0, 0, v25, s0
	v_add_co_u32 v27, s0, 0x1800, v23
	v_add_co_ci_u32_e64 v28, s0, 0, v25, s0
	s_clause 0x7
	global_load_dword v56, v[57:58], off offset:396
	global_load_dword v59, v[57:58], off offset:792
	;; [unrolled: 1-line block ×8, first 2 shown]
	ds_read2_b32 v[11:12], v33 offset1:99
	ds_read2_b32 v[27:28], v26 offset0:70 offset1:169
	ds_read2_b32 v[29:30], v52 offset0:140 offset1:239
	ds_read2_b32 v[53:54], v51 offset0:82 offset1:181
	ds_read_b32 v62, v33 offset:3168
	s_waitcnt lgkmcnt(4)
	v_lshrrev_b32_e32 v63, 16, v11
	v_lshrrev_b32_e32 v64, 16, v12
	s_waitcnt lgkmcnt(3)
	v_lshrrev_b32_e32 v65, 16, v27
	v_lshrrev_b32_e32 v66, 16, v28
	;; [unrolled: 3-line block ×4, first 2 shown]
	s_waitcnt lgkmcnt(0)
	v_lshrrev_b32_e32 v71, 16, v62
	s_waitcnt vmcnt(8)
	v_mul_f16_sdwa v72, v63, v55 dst_sel:DWORD dst_unused:UNUSED_PAD src0_sel:DWORD src1_sel:WORD_1
	v_mul_f16_sdwa v73, v11, v55 dst_sel:DWORD dst_unused:UNUSED_PAD src0_sel:DWORD src1_sel:WORD_1
	v_fma_f16 v11, v11, v55, -v72
	s_waitcnt vmcnt(7)
	v_mul_f16_sdwa v74, v64, v56 dst_sel:DWORD dst_unused:UNUSED_PAD src0_sel:DWORD src1_sel:WORD_1
	v_mul_f16_sdwa v75, v12, v56 dst_sel:DWORD dst_unused:UNUSED_PAD src0_sel:DWORD src1_sel:WORD_1
	s_waitcnt vmcnt(6)
	v_mul_f16_sdwa v76, v65, v59 dst_sel:DWORD dst_unused:UNUSED_PAD src0_sel:DWORD src1_sel:WORD_1
	v_mul_f16_sdwa v77, v27, v59 dst_sel:DWORD dst_unused:UNUSED_PAD src0_sel:DWORD src1_sel:WORD_1
	;; [unrolled: 3-line block ×8, first 2 shown]
	v_fmac_f16_e32 v73, v63, v55
	v_fma_f16 v12, v12, v56, -v74
	v_fmac_f16_e32 v75, v64, v56
	v_fma_f16 v27, v27, v59, -v76
	;; [unrolled: 2-line block ×8, first 2 shown]
	v_fmac_f16_e32 v89, v71, v58
	v_pack_b32_f16 v11, v11, v73
	v_pack_b32_f16 v12, v12, v75
	;; [unrolled: 1-line block ×9, first 2 shown]
	ds_write2_b32 v33, v11, v12 offset1:99
	ds_write2_b32 v26, v27, v28 offset0:70 offset1:169
	ds_write2_b32 v52, v29, v30 offset0:140 offset1:239
	;; [unrolled: 1-line block ×3, first 2 shown]
	ds_write_b32 v33, v53 offset:3168
	s_waitcnt lgkmcnt(0)
	s_barrier
	buffer_gl0_inv
	ds_read2_b32 v[11:12], v33 offset1:99
	ds_read2_b32 v[25:26], v26 offset0:70 offset1:169
	ds_read_b32 v23, v33 offset:3168
	ds_read2_b32 v[27:28], v51 offset0:82 offset1:181
	ds_read2_b32 v[29:30], v52 offset0:140 offset1:239
	s_waitcnt lgkmcnt(0)
	s_barrier
	buffer_gl0_inv
	v_lshrrev_b32_e32 v56, 16, v11
	v_pk_add_f16 v53, v12, v23
	v_pk_add_f16 v54, v25, v28
	;; [unrolled: 1-line block ×3, first 2 shown]
	v_pk_add_f16 v12, v12, v23 neg_lo:[0,1] neg_hi:[0,1]
	v_pk_add_f16 v23, v25, v28 neg_lo:[0,1] neg_hi:[0,1]
	;; [unrolled: 1-line block ×4, first 2 shown]
	v_pk_add_f16 v27, v29, v30
	v_pk_add_f16 v59, v54, v53
	v_lshrrev_b32_e32 v28, 16, v53
	v_fmamk_f16 v57, v53, 0x3a21, v11
	v_pk_mul_f16 v68, 0xb924, v26 op_sel_hi:[0,1]
	v_pk_fma_f16 v69, 0x3a21, v27, v11 op_sel_hi:[0,1,1]
	v_lshrrev_b32_e32 v58, 16, v54
	v_mul_f16_e32 v62, 0x3924, v12
	v_lshrrev_b32_e32 v63, 16, v12
	v_lshrrev_b32_e32 v65, 16, v26
	v_mul_f16_e32 v70, 0x3be1, v26
	v_pk_add_f16 v72, v26, v12
	v_pk_add_f16 v74, v55, v59
	v_pk_fma_f16 v68, 0x3be1, v12, v68 op_sel_hi:[0,1,1]
	v_pk_fma_f16 v69, 0x318f, v53, v69 op_sel_hi:[0,1,1]
	v_fmamk_f16 v60, v54, 0x3a21, v11
	v_pk_mul_f16 v61, 0x3aee, v25 op_sel_hi:[0,1]
	v_lshrrev_b32_e32 v64, 16, v23
	v_pk_mul_f16 v66, v55, 0.5 op_sel_hi:[1,0]
	v_lshrrev_b32_e32 v67, 16, v27
	v_fmamk_f16 v73, v28, 0x3a21, v56
	v_fmac_f16_e32 v57, 0x318f, v54
	v_fmac_f16_e32 v56, 0x3a21, v58
	v_mul_f16_e32 v75, 0x3924, v63
	v_fmac_f16_e32 v62, 0x3be1, v23
	v_mul_f16_e32 v76, 0x3be1, v65
	v_pk_add_f16 v71, v55, v11
	v_fma_f16 v70, v23, 0xb924, -v70
	v_pk_add_f16 v72, v72, v23 neg_lo:[0,1] neg_hi:[0,1]
	v_pk_add_f16 v59, v27, v59
	v_pk_add_f16 v29, v29, v74
	v_pk_fma_f16 v25, 0x3aee, v25, v68 op_sel_hi:[0,1,1] neg_lo:[0,1,0] neg_hi:[0,1,0]
	v_pk_fma_f16 v55, v55, 0.5, v69 op_sel_hi:[1,0,1] neg_lo:[1,0,0] neg_hi:[1,0,0]
	v_fmac_f16_e32 v60, 0x318f, v27
	v_fmac_f16_e32 v73, 0x318f, v58
	;; [unrolled: 1-line block ×3, first 2 shown]
	v_add_f16_e32 v58, v61, v62
	v_sub_f16_e32 v62, v57, v66
	v_fma_f16 v57, v64, 0xb924, -v76
	v_fmac_f16_e32 v56, 0x318f, v67
	v_add_f16_e32 v64, v61, v70
	v_pk_mul_f16 v69, 0x3aee, v72 op_sel_hi:[0,1]
	v_pk_fma_f16 v59, v59, 0.5, v71 op_sel_hi:[1,0,1] neg_lo:[1,0,0] neg_hi:[1,0,0]
	v_pk_add_f16 v29, v30, v29
	v_pk_fma_f16 v71, 0x3579, v23, v25 op_sel_hi:[0,1,1]
	v_pk_fma_f16 v23, 0xbb84, v54, v55 op_sel_hi:[0,1,1]
	v_sub_f16_e32 v68, v60, v66
	v_add_f16_sdwa v70, v61, v75 dst_sel:DWORD dst_unused:UNUSED_PAD src0_sel:WORD_1 src1_sel:DWORD
	v_add_f16_sdwa v61, v61, v57 dst_sel:DWORD dst_unused:UNUSED_PAD src0_sel:WORD_1 src1_sel:DWORD
	v_sub_f16_sdwa v54, v56, v66 dst_sel:DWORD dst_unused:UNUSED_PAD src0_sel:DWORD src1_sel:WORD_1
	v_fmac_f16_e32 v58, 0x3579, v26
	v_sub_f16_sdwa v26, v73, v66 dst_sel:DWORD dst_unused:UNUSED_PAD src0_sel:DWORD src1_sel:WORD_1
	v_fmac_f16_e32 v64, 0x3579, v12
	v_pk_add_f16 v12, v59, v69 op_sel:[0,1] op_sel_hi:[1,0]
	v_pk_add_f16 v11, v29, v11
	v_pk_add_f16 v29, v23, v71 op_sel:[0,1] op_sel_hi:[1,0] neg_lo:[0,1] neg_hi:[0,1]
	v_pk_add_f16 v23, v23, v71 op_sel:[0,1] op_sel_hi:[1,0]
	v_fmac_f16_e32 v68, 0xbb84, v53
	v_pk_add_f16 v30, v59, v69 op_sel:[0,1] op_sel_hi:[1,0] neg_lo:[0,1] neg_hi:[0,1]
	v_fmac_f16_e32 v61, 0x3579, v63
	v_fmac_f16_e32 v54, 0xbb84, v28
	;; [unrolled: 1-line block ×5, first 2 shown]
	v_lshrrev_b32_e32 v56, 16, v71
	v_lshrrev_b32_e32 v57, 16, v12
	v_mov_b32_e32 v28, v29
	v_lshrrev_b32_e32 v59, 16, v23
	v_lshrrev_b32_e32 v53, 16, v69
	v_mov_b32_e32 v27, v30
	v_sub_f16_e32 v25, v68, v61
	v_add_f16_e32 v55, v64, v54
	v_bfi_b32 v63, 0xffff, v30, v12
	v_sub_f16_e32 v12, v62, v70
	v_add_f16_e32 v60, v58, v26
	v_mov_b32_e32 v54, v57
	v_fmac_f16_e32 v28, 2.0, v56
	v_mov_b32_e32 v56, v59
	v_fmac_f16_e32 v27, 2.0, v53
	v_fma_f16 v26, 2.0, v61, v25
	v_fma_f16 v53, -2.0, v64, v55
	v_bfi_b32 v62, 0xffff, v29, v23
	v_fma_f16 v23, 2.0, v70, v12
	v_fma_f16 v58, -2.0, v58, v60
	v_fmac_f16_e32 v54, -2.0, v69
	v_fmac_f16_e32 v56, -2.0, v71
	v_pack_b32_f16 v61, v12, v60
	v_pack_b32_f16 v64, v25, v55
	;; [unrolled: 1-line block ×6, first 2 shown]
	ds_write2_b32 v45, v62, v63 offset0:2 offset1:3
	ds_write2_b32 v45, v11, v61 offset1:1
	ds_write2_b32 v45, v64, v65 offset0:4 offset1:5
	ds_write_b32 v45, v67 offset:32
	ds_write2_b32 v45, v66, v68 offset0:6 offset1:7
	s_waitcnt lgkmcnt(0)
	s_barrier
	buffer_gl0_inv
	s_and_saveexec_b32 s0, vcc_lo
	s_cbranch_execz .LBB0_7
; %bb.6:
	v_add_nc_u32_e32 v27, 0x600, v33
	ds_read2_b32 v[11:12], v33 offset1:81
	ds_read2_b32 v[29:30], v33 offset0:162 offset1:243
	ds_read2_b32 v[25:26], v52 offset0:68 offset1:149
	;; [unrolled: 1-line block ×4, first 2 shown]
	ds_read_b32 v49, v33 offset:3240
	s_waitcnt lgkmcnt(5)
	v_lshrrev_b32_e32 v60, 16, v12
	s_waitcnt lgkmcnt(4)
	v_lshrrev_b32_e32 v59, 16, v29
	v_lshrrev_b32_e32 v57, 16, v30
	s_waitcnt lgkmcnt(3)
	v_lshrrev_b32_e32 v55, 16, v25
	;; [unrolled: 3-line block ×5, first 2 shown]
.LBB0_7:
	s_or_b32 exec_lo, exec_lo, s0
	v_add_nc_u32_e32 v45, 0x318, v33
	s_barrier
	buffer_gl0_inv
	s_and_saveexec_b32 s0, vcc_lo
	s_cbranch_execz .LBB0_9
; %bb.8:
	v_mul_f16_sdwa v52, v4, v60 dst_sel:DWORD dst_unused:UNUSED_PAD src0_sel:WORD_1 src1_sel:DWORD
	v_mul_f16_sdwa v51, v10, v50 dst_sel:DWORD dst_unused:UNUSED_PAD src0_sel:WORD_1 src1_sel:DWORD
	;; [unrolled: 1-line block ×5, first 2 shown]
	v_fmac_f16_e32 v52, v4, v12
	v_fmac_f16_e32 v51, v10, v49
	v_mul_f16_sdwa v12, v5, v59 dst_sel:DWORD dst_unused:UNUSED_PAD src0_sel:WORD_1 src1_sel:DWORD
	v_mul_f16_sdwa v49, v9, v48 dst_sel:DWORD dst_unused:UNUSED_PAD src0_sel:WORD_1 src1_sel:DWORD
	v_fma_f16 v50, v10, v50, -v61
	v_fma_f16 v60, v4, v60, -v62
	v_sub_f16_e32 v4, v52, v51
	v_mul_f16_sdwa v61, v9, v24 dst_sel:DWORD dst_unused:UNUSED_PAD src0_sel:WORD_1 src1_sel:DWORD
	v_fmac_f16_e32 v12, v5, v29
	v_fmac_f16_e32 v49, v9, v24
	v_mul_f16_sdwa v29, v5, v29 dst_sel:DWORD dst_unused:UNUSED_PAD src0_sel:WORD_1 src1_sel:DWORD
	v_add_f16_e32 v24, v50, v60
	v_mul_f16_e32 v62, 0xbbeb, v4
	v_mul_f16_sdwa v64, v3, v58 dst_sel:DWORD dst_unused:UNUSED_PAD src0_sel:WORD_1 src1_sel:DWORD
	v_sub_f16_e32 v10, v12, v49
	v_fma_f16 v9, v9, v48, -v61
	v_fma_f16 v5, v5, v59, -v29
	v_fmamk_f16 v65, v24, 0xb08e, v62
	v_fmac_f16_e32 v63, v6, v30
	v_fmac_f16_e32 v64, v3, v23
	v_mul_f16_sdwa v23, v3, v23 dst_sel:DWORD dst_unused:UNUSED_PAD src0_sel:WORD_1 src1_sel:DWORD
	v_mul_f16_sdwa v29, v6, v30 dst_sel:DWORD dst_unused:UNUSED_PAD src0_sel:WORD_1 src1_sel:DWORD
	v_mul_f16_e32 v30, 0x3482, v10
	v_add_f16_e32 v48, v9, v5
	v_sub_f16_e32 v59, v63, v64
	v_fma_f16 v3, v3, v58, -v23
	v_fma_f16 v6, v6, v57, -v29
	v_add_f16_sdwa v23, v11, v65 dst_sel:DWORD dst_unused:UNUSED_PAD src0_sel:WORD_1 src1_sel:DWORD
	v_fmamk_f16 v29, v48, 0xbbad, v30
	v_mul_f16_e32 v57, 0x3b47, v59
	v_mul_f16_sdwa v61, v2, v56 dst_sel:DWORD dst_unused:UNUSED_PAD src0_sel:WORD_1 src1_sel:DWORD
	v_add_f16_e32 v58, v3, v6
	v_mul_f16_sdwa v67, v1, v54 dst_sel:DWORD dst_unused:UNUSED_PAD src0_sel:WORD_1 src1_sel:DWORD
	v_add_f16_e32 v23, v29, v23
	v_mul_f16_sdwa v29, v7, v55 dst_sel:DWORD dst_unused:UNUSED_PAD src0_sel:WORD_1 src1_sel:DWORD
	v_fmac_f16_e32 v61, v2, v28
	v_fmamk_f16 v65, v58, 0x36a6, v57
	v_mul_f16_sdwa v28, v2, v28 dst_sel:DWORD dst_unused:UNUSED_PAD src0_sel:WORD_1 src1_sel:DWORD
	v_fmac_f16_e32 v67, v1, v27
	v_fmac_f16_e32 v29, v7, v25
	v_mul_f16_sdwa v25, v7, v25 dst_sel:DWORD dst_unused:UNUSED_PAD src0_sel:WORD_1 src1_sel:DWORD
	v_add_f16_e32 v23, v65, v23
	v_mul_f16_sdwa v65, v0, v53 dst_sel:DWORD dst_unused:UNUSED_PAD src0_sel:WORD_1 src1_sel:DWORD
	v_fma_f16 v2, v2, v56, -v28
	v_add_f16_e32 v56, v51, v52
	v_fma_f16 v7, v7, v55, -v25
	v_sub_f16_e32 v25, v60, v50
	v_sub_f16_e32 v70, v5, v9
	v_mul_f16_sdwa v27, v1, v27 dst_sel:DWORD dst_unused:UNUSED_PAD src0_sel:WORD_1 src1_sel:DWORD
	v_fmac_f16_e32 v65, v0, v26
	v_mul_f16_sdwa v26, v0, v26 dst_sel:DWORD dst_unused:UNUSED_PAD src0_sel:WORD_1 src1_sel:DWORD
	v_mul_f16_e32 v68, 0xbbeb, v25
	v_add_f16_e32 v72, v49, v12
	v_mul_f16_e32 v73, 0x3482, v70
	v_fma_f16 v1, v1, v54, -v27
	v_sub_f16_e32 v27, v6, v3
	v_fma_f16 v71, v56, 0xb08e, -v68
	v_sub_f16_e32 v66, v29, v61
	v_fma_f16 v0, v0, v53, -v26
	v_fma_f16 v53, v72, 0xbbad, -v73
	v_add_f16_e32 v54, v64, v63
	v_add_f16_e32 v26, v11, v71
	v_mul_f16_e32 v71, 0x3b47, v27
	v_sub_f16_e32 v78, v7, v2
	v_mul_f16_e32 v28, 0xb853, v66
	v_add_f16_e32 v55, v2, v7
	v_sub_f16_e32 v69, v65, v67
	v_add_f16_e32 v26, v53, v26
	v_fma_f16 v53, v54, 0x36a6, -v71
	v_mul_f16_e32 v77, 0xba0c, v4
	v_add_f16_e32 v80, v61, v29
	v_mul_f16_e32 v81, 0xb853, v78
	v_sub_f16_e32 v82, v0, v1
	v_fmamk_f16 v74, v55, 0x3abb, v28
	v_mul_f16_e32 v75, 0xba0c, v69
	v_add_f16_e32 v76, v1, v0
	v_add_f16_e32 v26, v53, v26
	v_fmamk_f16 v53, v24, 0xb93d, v77
	v_mul_f16_e32 v79, 0x3beb, v10
	v_fma_f16 v85, v80, 0x3abb, -v81
	v_add_f16_e32 v86, v67, v65
	v_mul_f16_e32 v87, 0xba0c, v82
	v_add_f16_e32 v23, v74, v23
	v_fmamk_f16 v74, v76, 0xb93d, v75
	v_add_f16_sdwa v53, v11, v53 dst_sel:DWORD dst_unused:UNUSED_PAD src0_sel:WORD_1 src1_sel:DWORD
	v_fmamk_f16 v83, v48, 0xb08e, v79
	v_mul_f16_e32 v84, 0xb853, v59
	v_add_f16_e32 v26, v85, v26
	v_fma_f16 v85, v86, 0xb93d, -v87
	v_mul_f16_e32 v89, 0xba0c, v25
	v_fma_f16 v77, v24, 0xb93d, -v77
	v_add_f16_e32 v53, v83, v53
	v_fmamk_f16 v83, v58, 0x3abb, v84
	v_mul_f16_e32 v88, 0xb482, v66
	v_add_f16_e32 v23, v74, v23
	v_add_f16_e32 v26, v85, v26
	v_fma_f16 v74, v56, 0xb93d, -v89
	v_mul_f16_e32 v85, 0x3beb, v70
	v_fmac_f16_e32 v89, 0xb93d, v56
	v_add_f16_sdwa v77, v11, v77 dst_sel:DWORD dst_unused:UNUSED_PAD src0_sel:WORD_1 src1_sel:DWORD
	v_fma_f16 v79, v48, 0xb08e, -v79
	v_add_f16_e32 v53, v83, v53
	v_fmamk_f16 v83, v55, 0xbbad, v88
	v_add_f16_e32 v74, v11, v74
	v_fma_f16 v91, v72, 0xb08e, -v85
	v_mul_f16_e32 v92, 0xb853, v27
	v_add_f16_e32 v89, v11, v89
	v_fmac_f16_e32 v85, 0xb08e, v72
	v_add_f16_e32 v77, v79, v77
	v_fma_f16 v79, v58, 0x3abb, -v84
	v_add_f16_e32 v53, v83, v53
	v_mul_f16_e32 v83, 0x3b47, v69
	v_mul_f16_e32 v90, 0xb482, v4
	v_add_f16_e32 v74, v91, v74
	v_fma_f16 v91, v54, 0x3abb, -v92
	v_mul_f16_e32 v96, 0xb482, v78
	v_add_f16_e32 v85, v85, v89
	v_fmac_f16_e32 v92, 0x3abb, v54
	v_add_f16_e32 v77, v79, v77
	v_fma_f16 v79, v55, 0xbbad, -v88
	v_fma_f16 v62, v24, 0xb08e, -v62
	v_fmac_f16_e32 v68, 0xb08e, v56
	v_fmamk_f16 v94, v24, 0xbbad, v90
	v_mul_f16_e32 v95, 0x3853, v10
	v_add_f16_e32 v74, v91, v74
	v_fma_f16 v91, v80, 0xbbad, -v96
	v_mul_f16_e32 v99, 0x3b47, v82
	v_fma_f16 v90, v24, 0xbbad, -v90
	v_add_f16_e32 v85, v92, v85
	v_fmac_f16_e32 v96, 0xbbad, v80
	v_add_f16_e32 v77, v79, v77
	v_fma_f16 v79, v76, 0x36a6, -v83
	v_add_f16_sdwa v62, v11, v62 dst_sel:DWORD dst_unused:UNUSED_PAD src0_sel:WORD_1 src1_sel:DWORD
	v_fma_f16 v30, v48, 0xbbad, -v30
	v_add_f16_e32 v68, v11, v68
	v_fmac_f16_e32 v73, 0xbbad, v72
	v_fmamk_f16 v93, v76, 0x36a6, v83
	v_add_f16_sdwa v94, v11, v94 dst_sel:DWORD dst_unused:UNUSED_PAD src0_sel:WORD_1 src1_sel:DWORD
	v_fmamk_f16 v97, v48, 0x3abb, v95
	v_mul_f16_e32 v98, 0xba0c, v59
	v_add_f16_e32 v74, v91, v74
	v_fma_f16 v91, v86, 0x36a6, -v99
	v_mul_f16_e32 v101, 0xb482, v25
	v_add_f16_sdwa v90, v11, v90 dst_sel:DWORD dst_unused:UNUSED_PAD src0_sel:WORD_1 src1_sel:DWORD
	v_fma_f16 v95, v48, 0x3abb, -v95
	v_add_f16_e32 v83, v96, v85
	v_fmac_f16_e32 v99, 0x36a6, v86
	v_add_f16_e32 v77, v79, v77
	v_add_f16_e32 v30, v30, v62
	v_fma_f16 v57, v58, 0x36a6, -v57
	v_mul_f16_e32 v79, 0x36a6, v24
	v_add_f16_e32 v68, v73, v68
	v_fmac_f16_e32 v71, 0x36a6, v54
	v_add_f16_e32 v94, v97, v94
	v_fmamk_f16 v97, v58, 0xb93d, v98
	v_mul_f16_e32 v100, 0x3b47, v66
	v_add_f16_e32 v53, v93, v53
	v_add_f16_e32 v74, v91, v74
	v_fma_f16 v91, v56, 0xbbad, -v101
	v_mul_f16_e32 v93, 0x3853, v70
	v_add_f16_e32 v90, v95, v90
	v_fma_f16 v95, v58, 0xb93d, -v98
	v_fmac_f16_e32 v101, 0xbbad, v56
	v_add_f16_e32 v62, v99, v83
	v_add_f16_e32 v30, v57, v30
	v_fma_f16 v28, v55, 0x3abb, -v28
	v_fmamk_f16 v57, v4, 0x3b47, v79
	v_mul_f16_e32 v83, 0xb93d, v48
	v_add_f16_e32 v68, v71, v68
	v_fmac_f16_e32 v81, 0x3abb, v80
	v_add_f16_e32 v94, v97, v94
	v_fmamk_f16 v97, v55, 0x36a6, v100
	v_add_f16_e32 v91, v11, v91
	v_fma_f16 v102, v72, 0x3abb, -v93
	v_mul_f16_e32 v103, 0xba0c, v27
	v_add_f16_e32 v90, v95, v90
	v_fma_f16 v95, v55, 0x36a6, -v100
	v_add_f16_e32 v100, v11, v101
	v_fmac_f16_e32 v93, 0x3abb, v72
	v_add_f16_e32 v28, v28, v30
	v_add_f16_sdwa v30, v11, v57 dst_sel:DWORD dst_unused:UNUSED_PAD src0_sel:WORD_1 src1_sel:DWORD
	v_fmamk_f16 v57, v10, 0x3a0c, v83
	v_mul_f16_e32 v73, 0xbbad, v58
	v_fma_f16 v71, v76, 0xb93d, -v75
	v_add_f16_e32 v68, v81, v68
	v_mul_f16_e32 v81, 0xbb47, v25
	v_add_f16_sdwa v60, v60, v11 dst_sel:DWORD dst_unused:UNUSED_PAD src0_sel:DWORD src1_sel:WORD_1
	v_add_f16_e32 v94, v97, v94
	v_mul_f16_e32 v97, 0xbbeb, v69
	v_add_f16_e32 v91, v102, v91
	v_fma_f16 v102, v54, 0xb93d, -v103
	v_mul_f16_e32 v105, 0x3b47, v78
	v_add_f16_e32 v93, v93, v100
	v_fmac_f16_e32 v103, 0xb93d, v54
	v_add_f16_e32 v30, v57, v30
	v_fmamk_f16 v57, v59, 0xb482, v73
	v_mul_f16_e32 v75, 0xb08e, v55
	v_fmac_f16_e32 v87, 0xb93d, v86
	v_add_f16_e32 v28, v71, v28
	v_fmamk_f16 v71, v56, 0x36a6, v81
	v_mul_f16_e32 v85, 0xba0c, v70
	v_mul_f16_e32 v24, 0x3abb, v24
	v_add_f16_e32 v5, v5, v60
	v_fma_f16 v98, v80, 0x36a6, -v105
	v_add_f16_e32 v90, v95, v90
	v_fma_f16 v95, v76, 0xb08e, -v97
	v_add_f16_e32 v93, v103, v93
	v_fmac_f16_e32 v105, 0x36a6, v80
	v_add_f16_e32 v30, v57, v30
	v_fmamk_f16 v57, v66, 0xbbeb, v75
	v_add_f16_e32 v68, v87, v68
	v_add_f16_e32 v71, v11, v71
	v_fmamk_f16 v87, v72, 0xb93d, v85
	v_mul_f16_e32 v88, 0x3482, v27
	v_fmamk_f16 v92, v4, 0x3853, v24
	v_mul_f16_e32 v48, 0x36a6, v48
	v_add_f16_e32 v52, v11, v52
	v_add_f16_e32 v5, v6, v5
	;; [unrolled: 1-line block ×5, first 2 shown]
	v_mul_f16_e32 v57, 0x3abb, v76
	v_add_f16_e32 v71, v87, v71
	v_fmamk_f16 v87, v54, 0xbbad, v88
	v_mul_f16_e32 v93, 0x3beb, v78
	v_add_f16_sdwa v92, v11, v92 dst_sel:DWORD dst_unused:UNUSED_PAD src0_sel:WORD_1 src1_sel:DWORD
	v_fmamk_f16 v95, v10, 0x3b47, v48
	v_mul_f16_e32 v58, 0xb08e, v58
	v_add_f16_e32 v12, v12, v52
	v_add_f16_e32 v5, v7, v5
	v_fmamk_f16 v89, v69, 0xb853, v57
	v_add_f16_e32 v71, v87, v71
	v_fmamk_f16 v87, v80, 0xb08e, v93
	v_mul_f16_e32 v96, 0x3853, v82
	v_add_f16_e32 v92, v95, v92
	v_fmamk_f16 v95, v59, 0x3beb, v58
	v_mul_f16_e32 v55, 0xb93d, v55
	v_mul_f16_e32 v25, 0xb853, v25
	v_add_f16_e32 v12, v63, v12
	v_add_f16_e32 v0, v0, v5
	;; [unrolled: 1-line block ×4, first 2 shown]
	v_fmamk_f16 v87, v86, 0x3abb, v96
	v_add_f16_e32 v89, v95, v92
	v_fmamk_f16 v92, v66, 0x3a0c, v55
	v_fmamk_f16 v52, v56, 0x3abb, v25
	v_mul_f16_e32 v60, 0xbb47, v70
	v_mul_f16_e32 v70, 0xbbad, v76
	v_add_f16_e32 v12, v29, v12
	v_add_f16_e32 v0, v1, v0
	;; [unrolled: 1-line block ×5, first 2 shown]
	v_fmamk_f16 v52, v72, 0x36a6, v60
	v_mul_f16_e32 v27, 0xbbeb, v27
	v_fmamk_f16 v7, v69, 0x3482, v70
	v_add_f16_e32 v12, v65, v12
	v_add_f16_e32 v0, v2, v0
	;; [unrolled: 1-line block ×3, first 2 shown]
	v_fmamk_f16 v29, v54, 0xb08e, v27
	v_add_f16_e32 v5, v7, v87
	v_mul_f16_e32 v7, 0xba0c, v78
	v_add_f16_e32 v12, v67, v12
	v_add_f16_e32 v0, v3, v0
	v_fma_f16 v3, v56, 0x36a6, -v81
	v_add_f16_e32 v6, v29, v6
	v_fmamk_f16 v1, v80, 0xb93d, v7
	v_mul_f16_e32 v29, 0xb482, v82
	v_add_f16_e32 v12, v61, v12
	v_add_f16_e32 v0, v9, v0
	;; [unrolled: 1-line block ×3, first 2 shown]
	v_fma_f16 v9, v72, 0xb93d, -v85
	v_add_f16_e32 v1, v1, v6
	v_fmamk_f16 v6, v86, 0xbbad, v29
	v_add_f16_e32 v12, v64, v12
	v_fmac_f16_e32 v24, 0xb853, v4
	v_fmac_f16_e32 v79, 0xbb47, v4
	v_add_f16_e32 v3, v9, v3
	v_fma_f16 v4, v54, 0xbbad, -v88
	v_fma_f16 v9, v56, 0x3abb, -v25
	v_add_f16_e32 v1, v6, v1
	v_add_f16_e32 v6, v49, v12
	v_add_f16_sdwa v12, v11, v24 dst_sel:DWORD dst_unused:UNUSED_PAD src0_sel:WORD_1 src1_sel:DWORD
	v_fmac_f16_e32 v48, 0xbb47, v10
	v_add_f16_sdwa v2, v11, v79 dst_sel:DWORD dst_unused:UNUSED_PAD src0_sel:WORD_1 src1_sel:DWORD
	v_fmac_f16_e32 v83, 0xba0c, v10
	v_add_f16_e32 v3, v4, v3
	v_add_f16_e32 v4, v11, v9
	v_fma_f16 v9, v72, 0x36a6, -v60
	v_fma_f16 v10, v80, 0xb08e, -v93
	v_add_f16_e32 v11, v48, v12
	v_fmac_f16_e32 v58, 0xbbeb, v59
	v_mov_b32_e32 v12, 0x63
	v_add_f16_e32 v2, v83, v2
	v_fmac_f16_e32 v73, 0x3482, v59
	v_add_f16_e32 v4, v9, v4
	v_fma_f16 v9, v54, 0xb08e, -v27
	v_add_f16_e32 v3, v10, v3
	v_add_f16_e32 v10, v58, v11
	v_mul_u32_u24_sdwa v11, v44, v12 dst_sel:DWORD dst_unused:UNUSED_PAD src0_sel:WORD_0 src1_sel:DWORD
	v_add_f16_e32 v91, v102, v91
	v_mul_f16_e32 v102, 0xbbeb, v82
	v_add_f16_e32 v2, v73, v2
	v_fmac_f16_e32 v75, 0x3beb, v66
	v_fmac_f16_e32 v55, 0xba0c, v66
	v_add_f16_e32 v4, v9, v4
	v_fma_f16 v7, v80, 0xb93d, -v7
	v_add_f16_e32 v6, v51, v6
	v_add_f16_e32 v0, v50, v0
	v_add_nc_u32_sdwa v11, v11, v43 dst_sel:DWORD dst_unused:UNUSED_PAD src0_sel:DWORD src1_sel:BYTE_0
	v_add_f16_e32 v91, v98, v91
	v_fma_f16 v98, v86, 0xb08e, -v102
	v_fmac_f16_e32 v102, 0xb08e, v86
	v_fmamk_f16 v104, v76, 0xb08e, v97
	v_add_f16_e32 v2, v75, v2
	v_fmac_f16_e32 v57, 0x3853, v69
	v_fma_f16 v9, v86, 0x3abb, -v96
	v_add_f16_e32 v10, v55, v10
	v_fmac_f16_e32 v70, 0xb482, v69
	v_add_f16_e32 v4, v7, v4
	v_fma_f16 v7, v86, 0xbbad, -v29
	v_lshl_add_u32 v11, v11, 2, v42
	v_pack_b32_f16 v0, v6, v0
	v_pack_b32_f16 v1, v1, v5
	v_add_f16_e32 v84, v102, v84
	v_add_f16_e32 v94, v104, v94
	;; [unrolled: 1-line block ×7, first 2 shown]
	ds_write2_b32 v11, v0, v1 offset1:9
	v_pack_b32_f16 v0, v71, v30
	v_pack_b32_f16 v1, v68, v28
	;; [unrolled: 1-line block ×9, first 2 shown]
	ds_write2_b32 v11, v0, v1 offset0:18 offset1:27
	ds_write2_b32 v11, v6, v7 offset0:36 offset1:45
	;; [unrolled: 1-line block ×4, first 2 shown]
	ds_write_b32 v11, v3 offset:360
.LBB0_9:
	s_or_b32 exec_lo, exec_lo, s0
	v_add_nc_u32_e32 v2, 0x200, v33
	v_add_nc_u32_e32 v0, 0x800, v33
	;; [unrolled: 1-line block ×3, first 2 shown]
	s_waitcnt lgkmcnt(0)
	s_barrier
	buffer_gl0_inv
	ds_read2_b32 v[3:4], v33 offset1:99
	ds_read_b32 v7, v33 offset:3168
	ds_read2_b32 v[5:6], v2 offset0:70 offset1:169
	ds_read2_b32 v[9:10], v0 offset0:82 offset1:181
	;; [unrolled: 1-line block ×3, first 2 shown]
	s_waitcnt lgkmcnt(0)
	s_barrier
	buffer_gl0_inv
	s_mov_b32 s2, 0x7210aa18
	s_mov_b32 s3, 0x3f526369
	v_lshrrev_b32_e32 v25, 16, v7
	v_lshrrev_b32_e32 v26, 16, v6
	;; [unrolled: 1-line block ×3, first 2 shown]
	v_mul_f16_sdwa v43, v13, v6 dst_sel:DWORD dst_unused:UNUSED_PAD src0_sel:WORD_1 src1_sel:DWORD
	v_lshrrev_b32_e32 v28, 16, v11
	v_lshrrev_b32_e32 v29, 16, v10
	;; [unrolled: 1-line block ×3, first 2 shown]
	v_mul_f16_sdwa v44, v14, v9 dst_sel:DWORD dst_unused:UNUSED_PAD src0_sel:WORD_1 src1_sel:DWORD
	v_mul_f16_sdwa v48, v13, v11 dst_sel:DWORD dst_unused:UNUSED_PAD src0_sel:WORD_1 src1_sel:DWORD
	;; [unrolled: 1-line block ×3, first 2 shown]
	v_fma_f16 v26, v13, v26, -v43
	v_mul_f16_sdwa v43, v14, v27 dst_sel:DWORD dst_unused:UNUSED_PAD src0_sel:WORD_1 src1_sel:DWORD
	v_fma_f16 v27, v14, v27, -v44
	v_mul_f16_sdwa v44, v13, v28 dst_sel:DWORD dst_unused:UNUSED_PAD src0_sel:WORD_1 src1_sel:DWORD
	;; [unrolled: 2-line block ×3, first 2 shown]
	v_mul_f16_sdwa v51, v15, v42 dst_sel:DWORD dst_unused:UNUSED_PAD src0_sel:WORD_1 src1_sel:DWORD
	v_fmac_f16_e32 v50, v13, v6
	v_fmac_f16_e32 v43, v14, v9
	v_lshrrev_b32_e32 v23, 16, v3
	v_mul_f16_sdwa v49, v14, v10 dst_sel:DWORD dst_unused:UNUSED_PAD src0_sel:WORD_1 src1_sel:DWORD
	v_fmac_f16_e32 v44, v13, v11
	v_fmac_f16_e32 v48, v14, v10
	v_mul_f16_sdwa v6, v15, v12 dst_sel:DWORD dst_unused:UNUSED_PAD src0_sel:WORD_1 src1_sel:DWORD
	v_mul_f16_sdwa v10, v16, v25 dst_sel:DWORD dst_unused:UNUSED_PAD src0_sel:WORD_1 src1_sel:DWORD
	v_fmac_f16_e32 v51, v15, v12
	v_add_f16_e32 v12, v50, v43
	v_add_f16_e32 v13, v26, v27
	v_fma_f16 v9, v14, v29, -v49
	v_mul_f16_sdwa v11, v16, v7 dst_sel:DWORD dst_unused:UNUSED_PAD src0_sel:WORD_1 src1_sel:DWORD
	v_fmac_f16_e32 v10, v16, v7
	v_add_f16_e32 v7, v3, v50
	v_fma_f16 v3, -0.5, v12, v3
	v_sub_f16_e32 v12, v26, v27
	v_add_f16_e32 v14, v23, v26
	v_fmac_f16_e32 v23, -0.5, v13
	v_sub_f16_e32 v13, v50, v43
	v_lshrrev_b32_e32 v24, 16, v4
	v_fma_f16 v6, v15, v42, -v6
	v_fma_f16 v11, v16, v25, -v11
	v_fmamk_f16 v15, v12, 0xbaee, v3
	v_fmac_f16_e32 v3, 0x3aee, v12
	v_add_f16_e32 v12, v14, v27
	v_add_f16_e32 v14, v44, v48
	v_fmamk_f16 v16, v13, 0x3aee, v23
	v_fmac_f16_e32 v23, 0xbaee, v13
	v_add_f16_e32 v13, v28, v9
	v_add_f16_e32 v25, v4, v44
	v_fmac_f16_e32 v4, -0.5, v14
	v_sub_f16_e32 v14, v28, v9
	v_add_f16_e32 v26, v24, v28
	v_fmac_f16_e32 v24, -0.5, v13
	v_sub_f16_e32 v13, v44, v48
	v_lshrrev_b32_e32 v30, 16, v5
	v_fmamk_f16 v27, v14, 0xbaee, v4
	v_fmac_f16_e32 v4, 0x3aee, v14
	v_add_f16_e32 v9, v26, v9
	v_add_f16_e32 v14, v51, v10
	v_fmamk_f16 v26, v13, 0x3aee, v24
	v_fmac_f16_e32 v24, 0xbaee, v13
	v_add_f16_e32 v13, v6, v11
	v_add_f16_e32 v28, v5, v51
	v_fmac_f16_e32 v5, -0.5, v14
	v_sub_f16_e32 v14, v6, v11
	v_add_f16_e32 v6, v30, v6
	v_fmac_f16_e32 v30, -0.5, v13
	v_sub_f16_e32 v13, v51, v10
	v_add_f16_e32 v7, v7, v43
	v_add_f16_e32 v25, v25, v48
	;; [unrolled: 1-line block ×3, first 2 shown]
	v_fmamk_f16 v28, v14, 0xbaee, v5
	v_add_f16_e32 v6, v6, v11
	v_fmamk_f16 v11, v13, 0x3aee, v30
	v_fmac_f16_e32 v5, 0x3aee, v14
	v_fmac_f16_e32 v30, 0xbaee, v13
	v_pack_b32_f16 v7, v7, v12
	v_pack_b32_f16 v12, v15, v16
	;; [unrolled: 1-line block ×8, first 2 shown]
	v_add_nc_u32_e32 v11, 0x800, v46
	v_pack_b32_f16 v5, v5, v30
	ds_write2_b32 v33, v7, v12 offset1:99
	ds_write2_b32 v2, v3, v9 offset0:70 offset1:169
	ds_write2_b32 v1, v13, v4 offset0:140 offset1:239
	;; [unrolled: 1-line block ×3, first 2 shown]
	ds_write_b32 v46, v5 offset:3168
	s_waitcnt lgkmcnt(0)
	s_barrier
	buffer_gl0_inv
	ds_read2_b32 v[3:4], v33 offset1:99
	ds_read2_b32 v[5:6], v2 offset0:70 offset1:169
	ds_read2_b32 v[9:10], v0 offset0:82 offset1:181
	;; [unrolled: 1-line block ×3, first 2 shown]
	ds_read_b32 v7, v33 offset:3168
	s_waitcnt lgkmcnt(4)
	v_lshrrev_b32_e32 v13, 16, v3
	s_waitcnt lgkmcnt(3)
	v_lshrrev_b32_e32 v14, 16, v6
	;; [unrolled: 2-line block ×4, first 2 shown]
	v_mul_f16_sdwa v28, v21, v6 dst_sel:DWORD dst_unused:UNUSED_PAD src0_sel:WORD_1 src1_sel:DWORD
	v_lshrrev_b32_e32 v24, 16, v10
	v_mul_f16_sdwa v26, v21, v14 dst_sel:DWORD dst_unused:UNUSED_PAD src0_sel:WORD_1 src1_sel:DWORD
	v_mul_f16_sdwa v30, v22, v15 dst_sel:DWORD dst_unused:UNUSED_PAD src0_sel:WORD_1 src1_sel:DWORD
	v_lshrrev_b32_e32 v27, 16, v12
	v_fma_f16 v14, v21, v14, -v28
	s_waitcnt lgkmcnt(0)
	v_lshrrev_b32_e32 v29, 16, v7
	v_fmac_f16_e32 v26, v21, v6
	v_mul_f16_sdwa v6, v22, v9 dst_sel:DWORD dst_unused:UNUSED_PAD src0_sel:WORD_1 src1_sel:DWORD
	v_mul_f16_sdwa v21, v19, v23 dst_sel:DWORD dst_unused:UNUSED_PAD src0_sel:WORD_1 src1_sel:DWORD
	v_fmac_f16_e32 v30, v22, v9
	v_mul_f16_sdwa v9, v19, v11 dst_sel:DWORD dst_unused:UNUSED_PAD src0_sel:WORD_1 src1_sel:DWORD
	v_lshrrev_b32_e32 v16, 16, v4
	v_fma_f16 v6, v22, v15, -v6
	v_mul_f16_sdwa v15, v20, v24 dst_sel:DWORD dst_unused:UNUSED_PAD src0_sel:WORD_1 src1_sel:DWORD
	v_fmac_f16_e32 v21, v19, v11
	v_mul_f16_sdwa v11, v20, v10 dst_sel:DWORD dst_unused:UNUSED_PAD src0_sel:WORD_1 src1_sel:DWORD
	v_fma_f16 v9, v19, v23, -v9
	v_mul_f16_sdwa v19, v17, v27 dst_sel:DWORD dst_unused:UNUSED_PAD src0_sel:WORD_1 src1_sel:DWORD
	v_fmac_f16_e32 v15, v20, v10
	v_mul_f16_sdwa v10, v17, v12 dst_sel:DWORD dst_unused:UNUSED_PAD src0_sel:WORD_1 src1_sel:DWORD
	;; [unrolled: 4-line block ×3, first 2 shown]
	v_fma_f16 v10, v17, v27, -v10
	v_add_f16_e32 v17, v26, v30
	v_fmac_f16_e32 v20, v18, v7
	v_add_f16_e32 v7, v3, v26
	v_fma_f16 v12, v18, v29, -v12
	v_add_f16_e32 v18, v14, v6
	v_fma_f16 v3, -0.5, v17, v3
	v_sub_f16_e32 v17, v14, v6
	v_add_f16_e32 v14, v13, v14
	v_add_f16_e32 v23, v4, v21
	v_fmac_f16_e32 v13, -0.5, v18
	v_sub_f16_e32 v18, v26, v30
	v_fmamk_f16 v22, v17, 0xbaee, v3
	v_fmac_f16_e32 v3, 0x3aee, v17
	v_add_f16_e32 v6, v14, v6
	v_add_f16_e32 v14, v21, v15
	v_fmamk_f16 v17, v18, 0x3aee, v13
	v_fmac_f16_e32 v13, 0xbaee, v18
	v_add_f16_e32 v18, v9, v11
	v_lshrrev_b32_e32 v25, 16, v5
	v_fmac_f16_e32 v4, -0.5, v14
	v_sub_f16_e32 v14, v9, v11
	v_add_f16_e32 v23, v23, v15
	v_add_f16_e32 v9, v16, v9
	v_fmac_f16_e32 v16, -0.5, v18
	v_sub_f16_e32 v15, v21, v15
	v_add_f16_e32 v21, v19, v20
	v_fmamk_f16 v18, v14, 0xbaee, v4
	v_fmac_f16_e32 v4, 0x3aee, v14
	v_add_f16_e32 v9, v9, v11
	v_fmamk_f16 v11, v15, 0x3aee, v16
	v_add_f16_e32 v14, v5, v19
	v_fmac_f16_e32 v5, -0.5, v21
	v_sub_f16_e32 v21, v10, v12
	v_fmac_f16_e32 v16, 0xbaee, v15
	v_add_f16_e32 v15, v25, v10
	v_add_f16_e32 v10, v10, v12
	;; [unrolled: 1-line block ×3, first 2 shown]
	v_pack_b32_f16 v3, v3, v13
	v_add_f16_e32 v14, v14, v20
	v_add_f16_e32 v12, v15, v12
	v_fmac_f16_e32 v25, -0.5, v10
	v_sub_f16_e32 v10, v19, v20
	v_pack_b32_f16 v6, v7, v6
	v_pack_b32_f16 v7, v22, v17
	;; [unrolled: 1-line block ×3, first 2 shown]
	v_fmamk_f16 v24, v21, 0xbaee, v5
	v_fmamk_f16 v13, v10, 0x3aee, v25
	v_fmac_f16_e32 v5, 0x3aee, v21
	v_fmac_f16_e32 v25, 0xbaee, v10
	ds_write_b32 v33, v7 offset:1188
	ds_write_b32 v33, v3 offset:2376
	ds_write2_b32 v33, v6, v9 offset1:99
	v_pack_b32_f16 v3, v18, v11
	v_pack_b32_f16 v4, v4, v16
	;; [unrolled: 1-line block ×5, first 2 shown]
	ds_write_b32 v47, v3 offset:1584
	ds_write_b32 v47, v4 offset:2772
	;; [unrolled: 1-line block ×5, first 2 shown]
	s_waitcnt lgkmcnt(0)
	s_barrier
	buffer_gl0_inv
	ds_read2_b32 v[3:4], v33 offset1:99
	s_waitcnt lgkmcnt(0)
	v_lshrrev_b32_e32 v7, 16, v3
	v_lshrrev_b32_e32 v16, 16, v4
	v_mul_f16_sdwa v5, v41, v7 dst_sel:DWORD dst_unused:UNUSED_PAD src0_sel:WORD_1 src1_sel:DWORD
	v_mul_f16_sdwa v11, v40, v16 dst_sel:DWORD dst_unused:UNUSED_PAD src0_sel:WORD_1 src1_sel:DWORD
	v_fmac_f16_e32 v5, v41, v3
	v_mul_f16_sdwa v3, v41, v3 dst_sel:DWORD dst_unused:UNUSED_PAD src0_sel:WORD_1 src1_sel:DWORD
	v_fmac_f16_e32 v11, v40, v4
	v_cvt_f32_f16_e32 v5, v5
	v_fma_f16 v3, v41, v7, -v3
	v_cvt_f32_f16_e32 v14, v11
	v_cvt_f64_f32_e32 v[5:6], v5
	v_cvt_f32_f16_e32 v3, v3
	v_cvt_f64_f32_e32 v[9:10], v3
	v_mul_f64 v[5:6], v[5:6], s[2:3]
	v_mul_f64 v[9:10], v[9:10], s[2:3]
	v_and_or_b32 v3, 0x1ff, v6, v5
	v_lshrrev_b32_e32 v5, 8, v6
	v_bfe_u32 v7, v6, 20, 11
	v_cmp_ne_u32_e32 vcc_lo, 0, v3
	v_and_or_b32 v9, 0x1ff, v10, v9
	v_lshrrev_b32_e32 v12, 8, v10
	v_bfe_u32 v18, v10, 20, 11
	v_lshrrev_b32_e32 v10, 16, v10
	v_cndmask_b32_e64 v3, 0, 1, vcc_lo
	v_cmp_ne_u32_e32 vcc_lo, 0, v9
	v_sub_nc_u32_e32 v13, 0x3f1, v18
	v_add_nc_u32_e32 v18, 0xfffffc10, v18
	v_and_or_b32 v5, 0xffe, v5, v3
	v_sub_nc_u32_e32 v3, 0x3f1, v7
	v_cndmask_b32_e64 v9, 0, 1, vcc_lo
	v_med3_i32 v20, v13, 0, 13
	v_cvt_f64_f32_e32 v[13:14], v14
	v_or_b32_e32 v15, 0x1000, v5
	v_med3_i32 v3, v3, 0, 13
	v_and_or_b32 v9, 0xffe, v12, v9
	v_mad_u64_u32 v[11:12], null, s10, v8, 0
	v_cmp_gt_i32_e64 s0, 1, v18
	v_lshrrev_b32_e32 v17, v3, v15
	v_or_b32_e32 v19, 0x1000, v9
	v_lshlrev_b32_e32 v3, v3, v17
	v_lshrrev_b32_e32 v21, v20, v19
	v_cmp_ne_u32_e32 vcc_lo, v3, v15
	v_add_nc_u32_e32 v15, 0xfffffc10, v7
	v_lshlrev_b32_e32 v20, v20, v21
	v_cndmask_b32_e64 v3, 0, 1, vcc_lo
	v_cmp_gt_i32_e32 vcc_lo, 1, v15
	v_cmp_gt_i32_e64 s1, 31, v15
	v_or_b32_e32 v7, v17, v3
	v_lshl_or_b32 v17, v15, 12, v5
	v_mov_b32_e32 v3, v12
	v_cndmask_b32_e32 v17, v17, v7, vcc_lo
	v_cmp_ne_u32_e32 vcc_lo, v20, v19
	v_mad_u64_u32 v[7:8], null, s11, v8, v[3:4]
	v_mul_f16_sdwa v8, v40, v4 dst_sel:DWORD dst_unused:UNUSED_PAD src0_sel:WORD_1 src1_sel:DWORD
	v_mul_f64 v[3:4], v[13:14], s[2:3]
	v_cndmask_b32_e64 v12, 0, 1, vcc_lo
	v_and_b32_e32 v19, 7, v17
	v_lshl_or_b32 v20, v18, 12, v9
	v_fma_f16 v8, v40, v16, -v8
	v_lshrrev_b32_e32 v14, 2, v17
	v_or_b32_e32 v12, v21, v12
	v_cmp_lt_i32_e32 vcc_lo, 5, v19
	v_cvt_f32_f16_e32 v8, v8
	v_cndmask_b32_e64 v13, v20, v12, s0
	v_cmp_eq_u32_e64 s0, 3, v19
	v_mov_b32_e32 v12, v7
	v_cvt_f64_f32_e32 v[7:8], v8
	v_and_b32_e32 v16, 7, v13
	s_or_b32 vcc_lo, s0, vcc_lo
	v_lshrrev_b32_e32 v13, 2, v13
	v_add_co_ci_u32_e32 v14, vcc_lo, 0, v14, vcc_lo
	v_cmp_ne_u32_e32 vcc_lo, 0, v5
	v_cmp_eq_u32_e64 s0, 3, v16
	v_and_or_b32 v3, 0x1ff, v4, v3
	v_lshrrev_b32_e32 v17, 8, v4
	v_bfe_u32 v19, v4, 20, 11
	v_cndmask_b32_e64 v5, 0, 1, vcc_lo
	v_cmp_lt_i32_e32 vcc_lo, 5, v16
	v_cndmask_b32_e64 v16, 0x7c00, v14, s1
	v_lshrrev_b32_e32 v4, 16, v4
	v_sub_nc_u32_e32 v21, 0x3f1, v19
	v_lshl_or_b32 v5, v5, 9, 0x7c00
	s_or_b32 vcc_lo, s0, vcc_lo
	v_add_nc_u32_e32 v19, 0xfffffc10, v19
	v_add_co_ci_u32_e32 v13, vcc_lo, 0, v13, vcc_lo
	v_cmp_ne_u32_e32 vcc_lo, 0, v3
	v_mul_f64 v[7:8], v[7:8], s[2:3]
	ds_read2_b32 v[2:3], v2 offset0:70 offset1:169
	v_med3_i32 v21, v21, 0, 13
	v_cndmask_b32_e64 v14, 0, 1, vcc_lo
	v_cmp_gt_i32_e32 vcc_lo, 31, v18
	v_and_or_b32 v17, 0xffe, v17, v14
	v_cndmask_b32_e32 v20, 0x7c00, v13, vcc_lo
	v_cmp_ne_u32_e32 vcc_lo, 0, v9
	v_mad_u64_u32 v[13:14], null, s8, v39, 0
	v_or_b32_e32 v22, 0x1000, v17
	v_cndmask_b32_e64 v9, 0, 1, vcc_lo
	v_cmp_eq_u32_e32 vcc_lo, 0x40f, v15
	v_lshrrev_b32_e32 v23, v21, v22
	v_lshl_or_b32 v9, v9, 9, 0x7c00
	v_cndmask_b32_e32 v15, v16, v5, vcc_lo
	v_mov_b32_e32 v5, v14
	v_cmp_eq_u32_e32 vcc_lo, 0x40f, v18
	v_lshlrev_b32_e32 v14, v21, v23
	v_lshrrev_b32_e32 v16, 16, v6
	s_waitcnt lgkmcnt(0)
	v_lshrrev_b32_e32 v18, 16, v2
	v_mad_u64_u32 v[5:6], null, s9, v39, v[5:6]
	v_cndmask_b32_e32 v9, v20, v9, vcc_lo
	v_and_or_b32 v6, 0x1ff, v8, v7
	v_cmp_ne_u32_e32 vcc_lo, v14, v22
	v_mul_f16_sdwa v7, v38, v18 dst_sel:DWORD dst_unused:UNUSED_PAD src0_sel:WORD_1 src1_sel:DWORD
	v_lshrrev_b32_e32 v20, 8, v8
	v_bfe_u32 v21, v8, 20, 11
	v_lshl_or_b32 v22, v19, 12, v17
	v_cndmask_b32_e64 v14, 0, 1, vcc_lo
	v_cmp_ne_u32_e32 vcc_lo, 0, v6
	v_fmac_f16_e32 v7, v38, v2
	v_and_or_b32 v9, 0x8000, v10, v9
	v_mul_f16_sdwa v2, v38, v2 dst_sel:DWORD dst_unused:UNUSED_PAD src0_sel:WORD_1 src1_sel:DWORD
	v_or_b32_e32 v14, v23, v14
	v_cndmask_b32_e64 v6, 0, 1, vcc_lo
	v_cmp_gt_i32_e32 vcc_lo, 1, v19
	v_sub_nc_u32_e32 v23, 0x3f1, v21
	v_cvt_f32_f16_e32 v7, v7
	v_fma_f16 v2, v38, v18, -v2
	v_and_or_b32 v20, 0xffe, v20, v6
	v_cndmask_b32_e32 v22, v22, v14, vcc_lo
	v_and_or_b32 v14, 0x8000, v16, v15
	v_med3_i32 v16, v23, 0, 13
	v_cvt_f64_f32_e32 v[6:7], v7
	v_or_b32_e32 v15, 0x1000, v20
	v_and_b32_e32 v23, 7, v22
	v_and_b32_e32 v10, 0xffff, v14
	v_mov_b32_e32 v14, v5
	v_lshrrev_b32_e32 v5, 2, v22
	v_lshrrev_b32_e32 v24, v16, v15
	v_cmp_lt_i32_e32 vcc_lo, 5, v23
	v_cmp_eq_u32_e64 s0, 3, v23
	v_lshl_or_b32 v23, v9, 16, v10
	v_lshlrev_b64 v[9:10], 2, v[11:12]
	v_lshlrev_b32_e32 v16, v16, v24
	v_cvt_f32_f16_e32 v2, v2
	s_or_b32 vcc_lo, s0, vcc_lo
	v_add_co_ci_u32_e32 v11, vcc_lo, 0, v5, vcc_lo
	v_cmp_ne_u32_e32 vcc_lo, v16, v15
	v_add_nc_u32_e32 v15, 0xfffffc10, v21
	v_cndmask_b32_e64 v12, 0, 1, vcc_lo
	v_cmp_ne_u32_e32 vcc_lo, 0, v17
	v_mul_f64 v[5:6], v[6:7], s[2:3]
	v_lshl_or_b32 v16, v15, 12, v20
	v_or_b32_e32 v12, v24, v12
	v_cndmask_b32_e64 v7, 0, 1, vcc_lo
	v_cmp_gt_i32_e32 vcc_lo, 31, v19
	v_lshl_or_b32 v7, v7, 9, 0x7c00
	v_cndmask_b32_e32 v11, 0x7c00, v11, vcc_lo
	v_cmp_gt_i32_e32 vcc_lo, 1, v15
	v_cndmask_b32_e32 v16, v16, v12, vcc_lo
	v_cmp_eq_u32_e32 vcc_lo, 0x40f, v19
	v_cndmask_b32_e32 v7, v11, v7, vcc_lo
	v_cvt_f64_f32_e32 v[11:12], v2
	v_and_or_b32 v5, 0x1ff, v6, v5
	v_and_b32_e32 v2, 7, v16
	v_add_co_u32 v17, vcc_lo, s4, v9
	v_add_co_ci_u32_e32 v18, vcc_lo, s5, v10, vcc_lo
	v_cmp_ne_u32_e64 s1, 0, v5
	v_lshlrev_b64 v[9:10], 2, v[13:14]
	v_and_or_b32 v13, 0x8000, v4, v7
	v_lshrrev_b32_e32 v5, 8, v6
	v_cmp_lt_i32_e32 vcc_lo, 5, v2
	v_cndmask_b32_e64 v4, 0, 1, s1
	v_cmp_eq_u32_e64 s0, 3, v2
	v_bfe_u32 v14, v6, 20, 11
	v_lshrrev_b32_e32 v2, 2, v16
	v_and_b32_e32 v13, 0xffff, v13
	v_and_or_b32 v16, 0xffe, v5, v4
	s_or_b32 vcc_lo, s0, vcc_lo
	s_mul_i32 s0, s9, 0x18c
	v_add_co_ci_u32_e32 v2, vcc_lo, 0, v2, vcc_lo
	v_mul_f64 v[4:5], v[11:12], s[2:3]
	v_sub_nc_u32_e32 v11, 0x3f1, v14
	v_cmp_ne_u32_e32 vcc_lo, 0, v20
	v_or_b32_e32 v19, 0x1000, v16
	v_lshrrev_b32_e32 v12, 16, v3
	s_mul_hi_u32 s4, s8, 0x18c
	v_med3_i32 v11, v11, 0, 13
	v_cndmask_b32_e64 v7, 0, 1, vcc_lo
	v_cmp_gt_i32_e32 vcc_lo, 31, v15
	v_mul_f16_sdwa v20, v37, v12 dst_sel:DWORD dst_unused:UNUSED_PAD src0_sel:WORD_1 src1_sel:DWORD
	s_mul_i32 s5, s8, 0x18c
	v_lshrrev_b32_e32 v21, v11, v19
	v_lshl_or_b32 v7, v7, 9, 0x7c00
	v_cndmask_b32_e32 v2, 0x7c00, v2, vcc_lo
	v_cmp_eq_u32_e32 vcc_lo, 0x40f, v15
	v_fmac_f16_e32 v20, v37, v3
	v_lshlrev_b32_e32 v11, v11, v21
	v_lshrrev_b32_e32 v15, 16, v8
	s_add_i32 s4, s4, s0
	v_cndmask_b32_e32 v2, v2, v7, vcc_lo
	v_add_co_u32 v7, vcc_lo, v17, v9
	v_add_co_ci_u32_e32 v8, vcc_lo, v18, v10, vcc_lo
	v_and_or_b32 v4, 0x1ff, v5, v4
	v_cmp_ne_u32_e32 vcc_lo, v11, v19
	v_cvt_f32_f16_e32 v9, v20
	v_and_or_b32 v2, 0x8000, v15, v2
	v_add_nc_u32_e32 v15, 0xfffffc10, v14
	v_lshrrev_b32_e32 v14, 8, v5
	v_cndmask_b32_e64 v11, 0, 1, vcc_lo
	v_cmp_ne_u32_e32 vcc_lo, 0, v4
	v_cvt_f64_f32_e32 v[9:10], v9
	v_bfe_u32 v17, v5, 20, 11
	v_lshl_or_b32 v18, v15, 12, v16
	v_or_b32_e32 v11, v21, v11
	v_cndmask_b32_e64 v4, 0, 1, vcc_lo
	v_cmp_gt_i32_e32 vcc_lo, 1, v15
	v_lshl_or_b32 v19, v2, 16, v13
	v_mul_f16_sdwa v21, v37, v3 dst_sel:DWORD dst_unused:UNUSED_PAD src0_sel:WORD_1 src1_sel:DWORD
	v_lshrrev_b32_e32 v6, 16, v6
	v_and_or_b32 v4, 0xffe, v14, v4
	v_sub_nc_u32_e32 v14, 0x3f1, v17
	v_cndmask_b32_e32 v11, v18, v11, vcc_lo
	v_add_co_u32 v2, vcc_lo, v7, s5
	v_or_b32_e32 v18, 0x1000, v4
	v_med3_i32 v14, v14, 0, 13
	v_and_b32_e32 v13, 7, v11
	v_add_co_ci_u32_e32 v3, vcc_lo, s4, v8, vcc_lo
	v_fma_f16 v12, v37, v12, -v21
	v_lshrrev_b32_e32 v20, v14, v18
	v_cmp_lt_i32_e32 vcc_lo, 5, v13
	v_mul_f64 v[9:10], v[9:10], s[2:3]
	v_cmp_eq_u32_e64 s0, 3, v13
	v_lshrrev_b32_e32 v11, 2, v11
	v_lshlrev_b32_e32 v14, v14, v20
	v_cvt_f32_f16_e32 v12, v12
	v_add_nc_u32_e32 v17, 0xfffffc10, v17
	s_or_b32 vcc_lo, s0, vcc_lo
	v_cmp_ne_u32_e64 s1, v14, v18
	v_add_co_ci_u32_e32 v18, vcc_lo, 0, v11, vcc_lo
	v_cmp_ne_u32_e32 vcc_lo, 0, v16
	v_cvt_f64_f32_e32 v[11:12], v12
	v_cndmask_b32_e64 v13, 0, 1, s1
	v_lshl_or_b32 v21, v17, 12, v4
	v_or_b32_e32 v20, v20, v13
	ds_read2_b32 v[13:14], v1 offset0:140 offset1:239
	v_cndmask_b32_e64 v1, 0, 1, vcc_lo
	v_cmp_gt_i32_e32 vcc_lo, 1, v17
	v_and_or_b32 v9, 0x1ff, v10, v9
	v_bfe_u32 v22, v10, 20, 11
	global_store_dword v[7:8], v23, off
	global_store_dword v[2:3], v19, off
	v_lshl_or_b32 v1, v1, 9, 0x7c00
	v_cndmask_b32_e32 v16, v21, v20, vcc_lo
	v_cmp_gt_i32_e32 vcc_lo, 31, v15
	v_lshrrev_b32_e32 v21, 8, v10
	v_lshrrev_b32_e32 v10, 16, v10
	v_and_b32_e32 v20, 7, v16
	v_cndmask_b32_e32 v18, 0x7c00, v18, vcc_lo
	v_cmp_ne_u32_e32 vcc_lo, 0, v9
	v_mul_f64 v[11:12], v[11:12], s[2:3]
	v_lshrrev_b32_e32 v16, 2, v16
	v_cmp_eq_u32_e64 s0, 3, v20
	v_cndmask_b32_e64 v9, 0, 1, vcc_lo
	v_cmp_eq_u32_e32 vcc_lo, 0x40f, v15
	v_sub_nc_u32_e32 v15, 0x3f1, v22
	v_and_or_b32 v9, 0xffe, v21, v9
	v_cndmask_b32_e32 v1, v18, v1, vcc_lo
	v_cmp_lt_i32_e32 vcc_lo, 5, v20
	v_med3_i32 v15, v15, 0, 13
	s_waitcnt lgkmcnt(0)
	v_lshrrev_b32_e32 v18, 16, v13
	v_or_b32_e32 v20, 0x1000, v9
	v_and_or_b32 v1, 0x8000, v6, v1
	s_or_b32 vcc_lo, s0, vcc_lo
	v_add_co_ci_u32_e32 v16, vcc_lo, 0, v16, vcc_lo
	v_cmp_ne_u32_e32 vcc_lo, 0, v4
	v_lshrrev_b32_e32 v24, v15, v20
	v_mul_f16_sdwa v21, v36, v18 dst_sel:DWORD dst_unused:UNUSED_PAD src0_sel:WORD_1 src1_sel:DWORD
	v_and_or_b32 v11, 0x1ff, v12, v11
	v_and_b32_e32 v1, 0xffff, v1
	v_cndmask_b32_e64 v4, 0, 1, vcc_lo
	v_cmp_gt_i32_e32 vcc_lo, 31, v17
	v_lshlrev_b32_e32 v6, v15, v24
	v_fmac_f16_e32 v21, v36, v13
	v_mul_f16_sdwa v13, v36, v13 dst_sel:DWORD dst_unused:UNUSED_PAD src0_sel:WORD_1 src1_sel:DWORD
	v_lshl_or_b32 v4, v4, 9, 0x7c00
	v_cndmask_b32_e32 v16, 0x7c00, v16, vcc_lo
	v_cmp_eq_u32_e32 vcc_lo, 0x40f, v17
	v_cvt_f32_f16_e32 v15, v21
	v_lshrrev_b32_e32 v17, 16, v5
	v_bfe_u32 v21, v12, 20, 11
	v_cndmask_b32_e32 v16, v16, v4, vcc_lo
	v_cmp_ne_u32_e32 vcc_lo, v6, v20
	v_cvt_f64_f32_e32 v[4:5], v15
	v_add_nc_u32_e32 v15, 0xfffffc10, v22
	v_lshrrev_b32_e32 v20, 8, v12
	v_and_or_b32 v16, 0x8000, v17, v16
	v_cndmask_b32_e64 v6, 0, 1, vcc_lo
	v_cmp_ne_u32_e32 vcc_lo, 0, v11
	v_lshl_or_b32 v17, v15, 12, v9
	v_lshrrev_b32_e32 v12, 16, v12
	v_lshl_or_b32 v8, v16, 16, v1
	v_or_b32_e32 v6, v24, v6
	v_cndmask_b32_e64 v11, 0, 1, vcc_lo
	v_cmp_gt_i32_e32 vcc_lo, 1, v15
	v_and_or_b32 v11, 0xffe, v20, v11
	v_sub_nc_u32_e32 v20, 0x3f1, v21
	v_cndmask_b32_e32 v6, v17, v6, vcc_lo
	v_add_co_u32 v1, vcc_lo, v2, s5
	v_or_b32_e32 v17, 0x1000, v11
	v_med3_i32 v20, v20, 0, 13
	v_and_b32_e32 v7, 7, v6
	v_mul_f64 v[4:5], v[4:5], s[2:3]
	v_add_co_ci_u32_e32 v2, vcc_lo, s4, v3, vcc_lo
	v_lshrrev_b32_e32 v16, v20, v17
	v_cmp_lt_i32_e32 vcc_lo, 5, v7
	v_cmp_eq_u32_e64 s0, 3, v7
	v_lshrrev_b32_e32 v6, 2, v6
	v_fma_f16 v7, v36, v18, -v13
	v_lshlrev_b32_e32 v3, v20, v16
	v_add_nc_u32_e32 v13, 0xfffffc10, v21
	s_or_b32 vcc_lo, s0, vcc_lo
	global_store_dword v[1:2], v8, off
	v_cmp_ne_u32_e64 s1, v3, v17
	v_add_co_ci_u32_e32 v17, vcc_lo, 0, v6, vcc_lo
	v_cmp_ne_u32_e32 vcc_lo, 0, v9
	v_cvt_f32_f16_e32 v6, v7
	v_cndmask_b32_e64 v3, 0, 1, s1
	v_cndmask_b32_e64 v9, 0, 1, vcc_lo
	v_cmp_gt_i32_e32 vcc_lo, 1, v13
	v_or_b32_e32 v3, v16, v3
	v_lshl_or_b32 v16, v13, 12, v11
	v_cvt_f64_f32_e32 v[6:7], v6
	v_and_or_b32 v4, 0x1ff, v5, v4
	v_lshl_or_b32 v9, v9, 9, 0x7c00
	v_lshrrev_b32_e32 v18, 8, v5
	v_cndmask_b32_e32 v3, v16, v3, vcc_lo
	v_cmp_gt_i32_e32 vcc_lo, 31, v15
	v_bfe_u32 v19, v5, 20, 11
	v_cndmask_b32_e32 v16, 0x7c00, v17, vcc_lo
	v_cmp_ne_u32_e32 vcc_lo, 0, v4
	v_and_b32_e32 v17, 7, v3
	v_cndmask_b32_e64 v4, 0, 1, vcc_lo
	v_cmp_eq_u32_e32 vcc_lo, 0x40f, v15
	v_cmp_eq_u32_e64 s0, 3, v17
	v_and_or_b32 v15, 0xffe, v18, v4
	v_cndmask_b32_e32 v9, v16, v9, vcc_lo
	v_cmp_lt_i32_e32 vcc_lo, 5, v17
	v_sub_nc_u32_e32 v4, 0x3f1, v19
	v_lshrrev_b32_e32 v17, 2, v3
	v_lshrrev_b32_e32 v16, 16, v14
	v_or_b32_e32 v18, 0x1000, v15
	s_or_b32 vcc_lo, s0, vcc_lo
	v_med3_i32 v20, v4, 0, 13
	v_mul_f64 v[3:4], v[6:7], s[2:3]
	v_add_co_ci_u32_e32 v7, vcc_lo, 0, v17, vcc_lo
	v_mul_f16_sdwa v6, v35, v16 dst_sel:DWORD dst_unused:UNUSED_PAD src0_sel:WORD_1 src1_sel:DWORD
	v_cmp_ne_u32_e32 vcc_lo, 0, v11
	v_lshrrev_b32_e32 v17, v20, v18
	v_and_or_b32 v9, 0x8000, v10, v9
	v_fmac_f16_e32 v6, v35, v14
	v_cndmask_b32_e64 v11, 0, 1, vcc_lo
	v_cmp_gt_i32_e32 vcc_lo, 31, v13
	v_lshlrev_b32_e32 v20, v20, v17
	v_and_b32_e32 v9, 0xffff, v9
	v_cvt_f32_f16_e32 v6, v6
	v_lshl_or_b32 v11, v11, 9, 0x7c00
	v_cndmask_b32_e32 v7, 0x7c00, v7, vcc_lo
	v_cmp_eq_u32_e32 vcc_lo, 0x40f, v13
	v_mul_f16_sdwa v14, v35, v14 dst_sel:DWORD dst_unused:UNUSED_PAD src0_sel:WORD_1 src1_sel:DWORD
	v_cndmask_b32_e32 v11, v7, v11, vcc_lo
	v_cvt_f64_f32_e32 v[6:7], v6
	v_cmp_ne_u32_e32 vcc_lo, v20, v18
	v_and_or_b32 v3, 0x1ff, v4, v3
	v_add_nc_u32_e32 v18, 0xfffffc10, v19
	v_and_or_b32 v10, 0x8000, v12, v11
	v_cndmask_b32_e64 v13, 0, 1, vcc_lo
	v_cmp_ne_u32_e32 vcc_lo, 0, v3
	v_lshl_or_b32 v12, v18, 12, v15
	v_lshl_or_b32 v9, v10, 16, v9
	v_or_b32_e32 v11, v17, v13
	v_cndmask_b32_e64 v3, 0, 1, vcc_lo
	v_lshrrev_b32_e32 v13, 8, v4
	v_bfe_u32 v17, v4, 20, 11
	v_cmp_gt_i32_e32 vcc_lo, 1, v18
	v_and_or_b32 v3, 0xffe, v13, v3
	v_sub_nc_u32_e32 v8, 0x3f1, v17
	v_cndmask_b32_e32 v11, v12, v11, vcc_lo
	v_add_co_u32 v1, vcc_lo, v1, s5
	v_mul_f64 v[6:7], v[6:7], s[2:3]
	v_or_b32_e32 v12, 0x1000, v3
	v_med3_i32 v8, v8, 0, 13
	v_and_b32_e32 v10, 7, v11
	v_add_co_ci_u32_e32 v2, vcc_lo, s4, v2, vcc_lo
	v_lshrrev_b32_e32 v13, v8, v12
	v_cmp_lt_i32_e32 vcc_lo, 5, v10
	v_cmp_eq_u32_e64 s0, 3, v10
	global_store_dword v[1:2], v9, off
	v_lshrrev_b32_e32 v9, 2, v11
	v_lshlrev_b32_e32 v10, v8, v13
	v_fma_f16 v11, v35, v16, -v14
	s_or_b32 vcc_lo, s0, vcc_lo
	v_add_co_ci_u32_e32 v14, vcc_lo, 0, v9, vcc_lo
	v_cmp_ne_u32_e32 vcc_lo, v10, v12
	ds_read2_b32 v[8:9], v0 offset0:82 offset1:181
	v_cvt_f32_f16_e32 v10, v11
	v_add_nc_u32_e32 v12, 0xfffffc10, v17
	v_and_or_b32 v6, 0x1ff, v7, v6
	v_cndmask_b32_e64 v0, 0, 1, vcc_lo
	v_cmp_gt_i32_e32 vcc_lo, 31, v18
	v_cvt_f64_f32_e32 v[10:11], v10
	v_lshrrev_b32_e32 v16, 8, v7
	v_bfe_u32 v17, v7, 20, 11
	v_or_b32_e32 v0, v13, v0
	v_cndmask_b32_e32 v14, 0x7c00, v14, vcc_lo
	v_cmp_ne_u32_e32 vcc_lo, 0, v6
	v_lshl_or_b32 v13, v12, 12, v3
	v_lshrrev_b32_e32 v7, 16, v7
	v_cndmask_b32_e64 v6, 0, 1, vcc_lo
	v_cmp_ne_u32_e32 vcc_lo, 0, v15
	v_cndmask_b32_e64 v15, 0, 1, vcc_lo
	v_cmp_gt_i32_e32 vcc_lo, 1, v12
	v_lshl_or_b32 v15, v15, 9, 0x7c00
	v_cndmask_b32_e32 v0, v13, v0, vcc_lo
	v_and_or_b32 v13, 0xffe, v16, v6
	v_sub_nc_u32_e32 v6, 0x3f1, v17
	v_cmp_eq_u32_e32 vcc_lo, 0x40f, v18
	s_waitcnt lgkmcnt(0)
	v_lshrrev_b32_e32 v16, 16, v8
	v_and_b32_e32 v19, 7, v0
	v_or_b32_e32 v20, 0x1000, v13
	v_med3_i32 v6, v6, 0, 13
	v_cndmask_b32_e32 v14, v14, v15, vcc_lo
	v_lshrrev_b32_e32 v0, 2, v0
	v_cmp_lt_i32_e32 vcc_lo, 5, v19
	v_cmp_eq_u32_e64 s0, 3, v19
	v_lshrrev_b32_e32 v15, v6, v20
	v_mul_f16_sdwa v21, v34, v16 dst_sel:DWORD dst_unused:UNUSED_PAD src0_sel:WORD_1 src1_sel:DWORD
	v_mul_f64 v[10:11], v[10:11], s[2:3]
	v_lshrrev_b32_e32 v18, 16, v5
	s_or_b32 vcc_lo, s0, vcc_lo
	v_lshlrev_b32_e32 v19, v6, v15
	v_add_co_ci_u32_e32 v0, vcc_lo, 0, v0, vcc_lo
	v_cmp_ne_u32_e32 vcc_lo, 0, v3
	v_fmac_f16_e32 v21, v34, v8
	v_add_nc_u32_e32 v17, 0xfffffc10, v17
	v_mul_f16_sdwa v8, v34, v8 dst_sel:DWORD dst_unused:UNUSED_PAD src0_sel:WORD_1 src1_sel:DWORD
	v_cndmask_b32_e64 v3, 0, 1, vcc_lo
	v_cmp_ne_u32_e32 vcc_lo, v19, v20
	v_cvt_f32_f16_e32 v5, v21
	v_lshrrev_b32_e32 v20, 16, v4
	v_fma_f16 v8, v34, v16, -v8
	v_lshl_or_b32 v3, v3, 9, 0x7c00
	v_cndmask_b32_e64 v19, 0, 1, vcc_lo
	v_cmp_gt_i32_e32 vcc_lo, 31, v12
	v_cvt_f64_f32_e32 v[5:6], v5
	v_or_b32_e32 v15, v15, v19
	v_cndmask_b32_e32 v0, 0x7c00, v0, vcc_lo
	v_cmp_eq_u32_e32 vcc_lo, 0x40f, v12
	v_lshl_or_b32 v19, v17, 12, v13
	v_and_or_b32 v10, 0x1ff, v11, v10
	v_cndmask_b32_e32 v0, v0, v3, vcc_lo
	v_cmp_gt_i32_e32 vcc_lo, 1, v17
	v_and_or_b32 v0, 0x8000, v20, v0
	v_cndmask_b32_e32 v12, v19, v15, vcc_lo
	v_cmp_ne_u32_e32 vcc_lo, 0, v10
	v_lshrrev_b32_e32 v15, 8, v11
	v_bfe_u32 v19, v11, 20, 11
	v_lshrrev_b32_e32 v20, 16, v9
	v_and_b32_e32 v21, 7, v12
	v_cndmask_b32_e64 v10, 0, 1, vcc_lo
	v_mul_f64 v[3:4], v[5:6], s[2:3]
	v_sub_nc_u32_e32 v5, 0x3f1, v19
	v_and_or_b32 v6, 0x8000, v18, v14
	v_cmp_lt_i32_e32 vcc_lo, 5, v21
	v_and_or_b32 v10, 0xffe, v15, v10
	v_cmp_eq_u32_e64 s0, 3, v21
	v_med3_i32 v5, v5, 0, 13
	v_lshrrev_b32_e32 v12, 2, v12
	v_and_b32_e32 v6, 0xffff, v6
	v_or_b32_e32 v14, 0x1000, v10
	s_or_b32 vcc_lo, s0, vcc_lo
	v_add_co_ci_u32_e32 v12, vcc_lo, 0, v12, vcc_lo
	v_lshrrev_b32_e32 v15, v5, v14
	v_lshl_or_b32 v16, v0, 16, v6
	v_cmp_gt_i32_e32 vcc_lo, 31, v17
	v_lshlrev_b32_e32 v0, v5, v15
	v_cvt_f32_f16_e32 v5, v8
	v_cndmask_b32_e32 v8, 0x7c00, v12, vcc_lo
	v_and_or_b32 v3, 0x1ff, v4, v3
	v_bfe_u32 v18, v4, 20, 11
	v_cmp_ne_u32_e32 vcc_lo, v0, v14
	v_cvt_f64_f32_e32 v[5:6], v5
	v_lshrrev_b32_e32 v14, 8, v4
	v_add_nc_u32_e32 v12, 0xfffffc10, v19
	v_cndmask_b32_e64 v0, 0, 1, vcc_lo
	v_cmp_ne_u32_e32 vcc_lo, 0, v3
	v_or_b32_e32 v0, v15, v0
	v_cndmask_b32_e64 v3, 0, 1, vcc_lo
	v_cmp_ne_u32_e32 vcc_lo, 0, v13
	v_lshl_or_b32 v15, v12, 12, v10
	v_and_or_b32 v14, 0xffe, v14, v3
	v_sub_nc_u32_e32 v3, 0x3f1, v18
	v_cndmask_b32_e64 v13, 0, 1, vcc_lo
	v_cmp_gt_i32_e32 vcc_lo, 1, v12
	v_or_b32_e32 v19, 0x1000, v14
	v_med3_i32 v3, v3, 0, 13
	v_lshl_or_b32 v13, v13, 9, 0x7c00
	v_cndmask_b32_e32 v15, v15, v0, vcc_lo
	v_cmp_eq_u32_e32 vcc_lo, 0x40f, v17
	v_mul_f64 v[5:6], v[5:6], s[2:3]
	v_lshrrev_b32_e32 v17, v3, v19
	v_cndmask_b32_e32 v8, v8, v13, vcc_lo
	v_and_b32_e32 v13, 7, v15
	v_add_co_u32 v0, vcc_lo, v1, s5
	v_lshlrev_b32_e32 v3, v3, v17
	v_add_co_ci_u32_e32 v1, vcc_lo, s4, v2, vcc_lo
	v_mul_f16_sdwa v2, v32, v20 dst_sel:DWORD dst_unused:UNUSED_PAD src0_sel:WORD_1 src1_sel:DWORD
	v_cmp_lt_i32_e32 vcc_lo, 5, v13
	v_cmp_eq_u32_e64 s0, 3, v13
	v_and_or_b32 v7, 0x8000, v7, v8
	v_lshrrev_b32_e32 v8, 2, v15
	v_cmp_ne_u32_e64 s1, v3, v19
	v_fmac_f16_e32 v2, v32, v9
	s_or_b32 vcc_lo, s0, vcc_lo
	v_add_nc_u32_e32 v13, 0xfffffc10, v18
	v_add_co_ci_u32_e32 v8, vcc_lo, 0, v8, vcc_lo
	v_cndmask_b32_e64 v3, 0, 1, s1
	v_cmp_ne_u32_e32 vcc_lo, 0, v10
	v_cvt_f32_f16_e32 v2, v2
	v_and_or_b32 v5, 0x1ff, v6, v5
	v_bfe_u32 v18, v6, 20, 11
	v_or_b32_e32 v15, v17, v3
	v_lshl_or_b32 v17, v13, 12, v14
	v_cndmask_b32_e64 v10, 0, 1, vcc_lo
	v_cmp_gt_i32_e32 vcc_lo, 1, v13
	v_cvt_f64_f32_e32 v[2:3], v2
	v_and_b32_e32 v7, 0xffff, v7
	v_mul_f16_sdwa v9, v32, v9 dst_sel:DWORD dst_unused:UNUSED_PAD src0_sel:WORD_1 src1_sel:DWORD
	v_lshl_or_b32 v10, v10, 9, 0x7c00
	v_cndmask_b32_e32 v15, v17, v15, vcc_lo
	v_cmp_ne_u32_e32 vcc_lo, 0, v5
	v_lshrrev_b32_e32 v17, 8, v6
	v_fma_f16 v9, v32, v20, -v9
	v_and_b32_e32 v19, 7, v15
	v_cndmask_b32_e64 v5, 0, 1, vcc_lo
	v_cmp_gt_i32_e32 vcc_lo, 31, v12
	v_cmp_eq_u32_e64 s0, 3, v19
	v_and_or_b32 v17, 0xffe, v17, v5
	v_cndmask_b32_e32 v8, 0x7c00, v8, vcc_lo
	v_cmp_eq_u32_e32 vcc_lo, 0x40f, v12
	v_cndmask_b32_e32 v5, v8, v10, vcc_lo
	v_lshrrev_b32_e32 v10, 16, v11
	v_sub_nc_u32_e32 v8, 0x3f1, v18
	v_cmp_lt_i32_e32 vcc_lo, 5, v19
	v_mul_f64 v[2:3], v[2:3], s[2:3]
	v_or_b32_e32 v11, 0x1000, v17
	v_and_or_b32 v5, 0x8000, v10, v5
	v_lshrrev_b32_e32 v10, 2, v15
	v_med3_i32 v8, v8, 0, 13
	s_or_b32 vcc_lo, s0, vcc_lo
	v_lshl_or_b32 v15, v5, 16, v7
	v_add_co_ci_u32_e32 v10, vcc_lo, 0, v10, vcc_lo
	v_lshrrev_b32_e32 v12, v8, v11
	v_cmp_ne_u32_e32 vcc_lo, 0, v14
	v_lshlrev_b32_e32 v5, v8, v12
	v_cndmask_b32_e64 v14, 0, 1, vcc_lo
	v_cmp_gt_i32_e32 vcc_lo, 31, v13
	v_lshl_or_b32 v8, v14, 9, 0x7c00
	v_cndmask_b32_e32 v7, 0x7c00, v10, vcc_lo
	v_cmp_ne_u32_e32 vcc_lo, v5, v11
	v_and_or_b32 v2, 0x1ff, v3, v2
	ds_read_b32 v14, v33 offset:3168
	v_add_nc_u32_e32 v11, 0xfffffc10, v18
	v_cndmask_b32_e64 v5, 0, 1, vcc_lo
	v_cmp_eq_u32_e32 vcc_lo, 0x40f, v13
	v_bfe_u32 v13, v3, 20, 11
	v_or_b32_e32 v5, v12, v5
	v_cndmask_b32_e32 v10, v7, v8, vcc_lo
	v_cmp_ne_u32_e32 vcc_lo, 0, v2
	v_lshl_or_b32 v12, v11, 12, v17
	v_cvt_f32_f16_e32 v7, v9
	v_lshrrev_b32_e32 v9, 8, v3
	v_lshrrev_b32_e32 v3, 16, v3
	v_cndmask_b32_e64 v2, 0, 1, vcc_lo
	v_cmp_gt_i32_e32 vcc_lo, 1, v11
	v_cvt_f64_f32_e32 v[7:8], v7
	v_and_or_b32 v2, 0xffe, v9, v2
	v_cndmask_b32_e32 v12, v12, v5, vcc_lo
	v_sub_nc_u32_e32 v5, 0x3f1, v13
	s_waitcnt lgkmcnt(0)
	v_lshrrev_b32_e32 v18, 16, v14
	v_lshrrev_b32_e32 v9, 16, v4
	v_or_b32_e32 v20, 0x1000, v2
	v_and_b32_e32 v19, 7, v12
	v_med3_i32 v21, v5, 0, 13
	v_add_co_u32 v4, vcc_lo, v0, s5
	v_mul_f16_sdwa v22, v31, v18 dst_sel:DWORD dst_unused:UNUSED_PAD src0_sel:WORD_1 src1_sel:DWORD
	v_add_co_ci_u32_e32 v5, vcc_lo, s4, v1, vcc_lo
	v_lshrrev_b32_e32 v24, v21, v20
	v_cmp_lt_i32_e32 vcc_lo, 5, v19
	v_cmp_eq_u32_e64 s0, 3, v19
	v_and_or_b32 v23, 0x8000, v9, v10
	v_lshrrev_b32_e32 v9, 2, v12
	v_lshlrev_b32_e32 v12, v21, v24
	v_fmac_f16_e32 v22, v31, v14
	s_or_b32 vcc_lo, s0, vcc_lo
	v_mul_f64 v[7:8], v[7:8], s[2:3]
	v_add_co_ci_u32_e32 v19, vcc_lo, 0, v9, vcc_lo
	v_cmp_ne_u32_e32 vcc_lo, v12, v20
	v_cvt_f32_f16_e32 v10, v22
	v_add_nc_u32_e32 v13, 0xfffffc10, v13
	v_mul_f16_sdwa v14, v31, v14 dst_sel:DWORD dst_unused:UNUSED_PAD src0_sel:WORD_1 src1_sel:DWORD
	v_cndmask_b32_e64 v12, 0, 1, vcc_lo
	v_cmp_ne_u32_e32 vcc_lo, 0, v17
	v_cvt_f64_f32_e32 v[9:10], v10
	v_lshl_or_b32 v20, v13, 12, v2
	v_fma_f16 v14, v31, v18, -v14
	v_or_b32_e32 v12, v24, v12
	v_cndmask_b32_e64 v17, 0, 1, vcc_lo
	v_cmp_gt_i32_e32 vcc_lo, 31, v11
	v_cvt_f32_f16_e32 v14, v14
	v_lshl_or_b32 v17, v17, 9, 0x7c00
	v_cndmask_b32_e32 v18, 0x7c00, v19, vcc_lo
	v_cmp_gt_i32_e32 vcc_lo, 1, v13
	v_lshrrev_b32_e32 v19, 8, v8
	v_cndmask_b32_e32 v12, v20, v12, vcc_lo
	v_cmp_eq_u32_e32 vcc_lo, 0x40f, v11
	v_bfe_u32 v20, v8, 20, 11
	v_cndmask_b32_e32 v11, v18, v17, vcc_lo
	v_and_or_b32 v17, 0x1ff, v8, v7
	v_mul_f64 v[9:10], v[9:10], s[2:3]
	v_lshrrev_b32_e32 v18, 16, v6
	v_cvt_f64_f32_e32 v[6:7], v14
	v_and_b32_e32 v14, 7, v12
	v_cmp_ne_u32_e32 vcc_lo, 0, v17
	v_lshrrev_b32_e32 v12, 2, v12
	v_and_or_b32 v11, 0x8000, v18, v11
	v_and_b32_e32 v18, 0xffff, v23
	v_cmp_eq_u32_e64 s0, 3, v14
	v_cndmask_b32_e64 v17, 0, 1, vcc_lo
	v_cmp_lt_i32_e32 vcc_lo, 5, v14
	v_lshrrev_b32_e32 v8, 16, v8
	v_lshl_or_b32 v11, v11, 16, v18
	v_and_or_b32 v17, 0xffe, v19, v17
	v_sub_nc_u32_e32 v19, 0x3f1, v20
	s_or_b32 vcc_lo, s0, vcc_lo
	v_add_co_ci_u32_e32 v12, vcc_lo, 0, v12, vcc_lo
	v_or_b32_e32 v14, 0x1000, v17
	v_med3_i32 v18, v19, 0, 13
	v_cmp_ne_u32_e32 vcc_lo, 0, v2
	v_and_or_b32 v9, 0x1ff, v10, v9
	v_mul_f64 v[6:7], v[6:7], s[2:3]
	v_lshrrev_b32_e32 v21, 8, v10
	v_lshrrev_b32_e32 v19, v18, v14
	v_cndmask_b32_e64 v2, 0, 1, vcc_lo
	v_cmp_gt_i32_e32 vcc_lo, 31, v13
	v_bfe_u32 v22, v10, 20, 11
	v_lshrrev_b32_e32 v10, 16, v10
	v_lshlrev_b32_e32 v18, v18, v19
	v_lshl_or_b32 v2, v2, 9, 0x7c00
	v_cndmask_b32_e32 v12, 0x7c00, v12, vcc_lo
	v_cmp_ne_u32_e32 vcc_lo, 0, v9
	v_cndmask_b32_e64 v9, 0, 1, vcc_lo
	v_cmp_ne_u32_e32 vcc_lo, v18, v14
	v_add_nc_u32_e32 v18, 0xfffffc10, v20
	v_sub_nc_u32_e32 v20, 0x3f1, v22
	v_and_or_b32 v9, 0xffe, v21, v9
	v_cndmask_b32_e64 v14, 0, 1, vcc_lo
	v_cmp_eq_u32_e32 vcc_lo, 0x40f, v13
	v_lshl_or_b32 v13, v18, 12, v17
	v_and_or_b32 v6, 0x1ff, v7, v6
	v_bfe_u32 v21, v7, 20, 11
	v_cndmask_b32_e32 v2, v12, v2, vcc_lo
	v_or_b32_e32 v12, v19, v14
	v_or_b32_e32 v14, 0x1000, v9
	v_med3_i32 v19, v20, 0, 13
	v_cmp_gt_i32_e32 vcc_lo, 1, v18
	v_lshrrev_b32_e32 v20, 8, v7
	v_and_or_b32 v2, 0x8000, v3, v2
	v_lshrrev_b32_e32 v7, 16, v7
	v_cndmask_b32_e32 v12, v13, v12, vcc_lo
	v_lshrrev_b32_e32 v13, v19, v14
	v_cmp_ne_u32_e32 vcc_lo, 0, v6
	v_and_b32_e32 v23, 7, v12
	v_lshlrev_b32_e32 v19, v19, v13
	v_cndmask_b32_e64 v6, 0, 1, vcc_lo
	v_lshrrev_b32_e32 v12, 2, v12
	v_cmp_lt_i32_e32 vcc_lo, 5, v23
	v_cmp_ne_u32_e64 s0, v19, v14
	v_and_or_b32 v3, 0xffe, v20, v6
	v_sub_nc_u32_e32 v6, 0x3f1, v21
	v_add_nc_u32_e32 v20, 0xfffffc10, v22
	v_cndmask_b32_e64 v14, 0, 1, s0
	v_cmp_eq_u32_e64 s0, 3, v23
	v_or_b32_e32 v19, 0x1000, v3
	v_med3_i32 v6, v6, 0, 13
	v_lshl_or_b32 v22, v20, 12, v9
	v_or_b32_e32 v13, v13, v14
	s_or_b32 vcc_lo, s0, vcc_lo
	v_add_co_ci_u32_e32 v12, vcc_lo, 0, v12, vcc_lo
	v_lshrrev_b32_e32 v14, v6, v19
	v_cmp_gt_i32_e32 vcc_lo, 1, v20
	v_lshlrev_b32_e32 v6, v6, v14
	v_cndmask_b32_e32 v13, v22, v13, vcc_lo
	v_cmp_ne_u32_e32 vcc_lo, 0, v17
	v_cndmask_b32_e64 v17, 0, 1, vcc_lo
	v_cmp_ne_u32_e32 vcc_lo, v6, v19
	v_add_nc_u32_e32 v19, 0xfffffc10, v21
	v_and_b32_e32 v21, 7, v13
	v_lshrrev_b32_e32 v13, 2, v13
	v_lshl_or_b32 v17, v17, 9, 0x7c00
	v_cndmask_b32_e64 v6, 0, 1, vcc_lo
	v_cmp_gt_i32_e32 vcc_lo, 31, v18
	v_cmp_gt_i32_e64 s1, 1, v19
	v_cmp_eq_u32_e64 s0, 3, v21
	v_or_b32_e32 v6, v14, v6
	v_lshl_or_b32 v14, v19, 12, v3
	v_cndmask_b32_e32 v12, 0x7c00, v12, vcc_lo
	v_cmp_lt_i32_e32 vcc_lo, 5, v21
	v_cndmask_b32_e64 v6, v14, v6, s1
	v_cmp_eq_u32_e64 s1, 0x40f, v18
	s_or_b32 vcc_lo, s0, vcc_lo
	v_add_co_ci_u32_e32 v13, vcc_lo, 0, v13, vcc_lo
	v_and_b32_e32 v14, 7, v6
	v_cmp_ne_u32_e32 vcc_lo, 0, v9
	v_lshrrev_b32_e32 v6, 2, v6
	v_cndmask_b32_e64 v12, v12, v17, s1
	v_cmp_gt_i32_e64 s1, 31, v20
	v_cmp_eq_u32_e64 s0, 3, v14
	v_cndmask_b32_e64 v9, 0, 1, vcc_lo
	v_cmp_lt_i32_e32 vcc_lo, 5, v14
	v_and_or_b32 v8, 0x8000, v8, v12
	v_cndmask_b32_e64 v13, 0x7c00, v13, s1
	v_and_b32_e32 v12, 0xffff, v2
	v_lshl_or_b32 v9, v9, 9, 0x7c00
	s_or_b32 vcc_lo, s0, vcc_lo
	v_add_co_ci_u32_e32 v6, vcc_lo, 0, v6, vcc_lo
	v_cmp_ne_u32_e32 vcc_lo, 0, v3
	v_cndmask_b32_e64 v3, 0, 1, vcc_lo
	v_cmp_eq_u32_e32 vcc_lo, 0x40f, v20
	v_lshl_or_b32 v3, v3, 9, 0x7c00
	v_cndmask_b32_e32 v9, v13, v9, vcc_lo
	v_cmp_gt_i32_e32 vcc_lo, 31, v19
	v_and_or_b32 v9, 0x8000, v10, v9
	v_cndmask_b32_e32 v6, 0x7c00, v6, vcc_lo
	v_cmp_eq_u32_e32 vcc_lo, 0x40f, v19
	v_lshl_or_b32 v10, v8, 16, v12
	v_and_b32_e32 v9, 0xffff, v9
	v_cndmask_b32_e32 v6, v6, v3, vcc_lo
	v_add_co_u32 v2, vcc_lo, v4, s5
	v_add_co_ci_u32_e32 v3, vcc_lo, s4, v5, vcc_lo
	v_and_or_b32 v8, 0x8000, v7, v6
	v_add_co_u32 v6, vcc_lo, v2, s5
	v_add_co_ci_u32_e32 v7, vcc_lo, s4, v3, vcc_lo
	v_lshl_or_b32 v12, v8, 16, v9
	v_add_co_u32 v8, vcc_lo, v6, s5
	v_add_co_ci_u32_e32 v9, vcc_lo, s4, v7, vcc_lo
	global_store_dword v[0:1], v16, off
	global_store_dword v[4:5], v15, off
	;; [unrolled: 1-line block ×5, first 2 shown]
.LBB0_10:
	s_endpgm
	.section	.rodata,"a",@progbits
	.p2align	6, 0x0
	.amdhsa_kernel bluestein_single_back_len891_dim1_half_op_CI_CI
		.amdhsa_group_segment_fixed_size 7128
		.amdhsa_private_segment_fixed_size 0
		.amdhsa_kernarg_size 104
		.amdhsa_user_sgpr_count 6
		.amdhsa_user_sgpr_private_segment_buffer 1
		.amdhsa_user_sgpr_dispatch_ptr 0
		.amdhsa_user_sgpr_queue_ptr 0
		.amdhsa_user_sgpr_kernarg_segment_ptr 1
		.amdhsa_user_sgpr_dispatch_id 0
		.amdhsa_user_sgpr_flat_scratch_init 0
		.amdhsa_user_sgpr_private_segment_size 0
		.amdhsa_wavefront_size32 1
		.amdhsa_uses_dynamic_stack 0
		.amdhsa_system_sgpr_private_segment_wavefront_offset 0
		.amdhsa_system_sgpr_workgroup_id_x 1
		.amdhsa_system_sgpr_workgroup_id_y 0
		.amdhsa_system_sgpr_workgroup_id_z 0
		.amdhsa_system_sgpr_workgroup_info 0
		.amdhsa_system_vgpr_workitem_id 0
		.amdhsa_next_free_vgpr 133
		.amdhsa_next_free_sgpr 20
		.amdhsa_reserve_vcc 1
		.amdhsa_reserve_flat_scratch 0
		.amdhsa_float_round_mode_32 0
		.amdhsa_float_round_mode_16_64 0
		.amdhsa_float_denorm_mode_32 3
		.amdhsa_float_denorm_mode_16_64 3
		.amdhsa_dx10_clamp 1
		.amdhsa_ieee_mode 1
		.amdhsa_fp16_overflow 0
		.amdhsa_workgroup_processor_mode 1
		.amdhsa_memory_ordered 1
		.amdhsa_forward_progress 0
		.amdhsa_shared_vgpr_count 0
		.amdhsa_exception_fp_ieee_invalid_op 0
		.amdhsa_exception_fp_denorm_src 0
		.amdhsa_exception_fp_ieee_div_zero 0
		.amdhsa_exception_fp_ieee_overflow 0
		.amdhsa_exception_fp_ieee_underflow 0
		.amdhsa_exception_fp_ieee_inexact 0
		.amdhsa_exception_int_div_zero 0
	.end_amdhsa_kernel
	.text
.Lfunc_end0:
	.size	bluestein_single_back_len891_dim1_half_op_CI_CI, .Lfunc_end0-bluestein_single_back_len891_dim1_half_op_CI_CI
                                        ; -- End function
	.section	.AMDGPU.csdata,"",@progbits
; Kernel info:
; codeLenInByte = 16436
; NumSgprs: 22
; NumVgprs: 133
; ScratchSize: 0
; MemoryBound: 0
; FloatMode: 240
; IeeeMode: 1
; LDSByteSize: 7128 bytes/workgroup (compile time only)
; SGPRBlocks: 2
; VGPRBlocks: 16
; NumSGPRsForWavesPerEU: 22
; NumVGPRsForWavesPerEU: 133
; Occupancy: 7
; WaveLimiterHint : 1
; COMPUTE_PGM_RSRC2:SCRATCH_EN: 0
; COMPUTE_PGM_RSRC2:USER_SGPR: 6
; COMPUTE_PGM_RSRC2:TRAP_HANDLER: 0
; COMPUTE_PGM_RSRC2:TGID_X_EN: 1
; COMPUTE_PGM_RSRC2:TGID_Y_EN: 0
; COMPUTE_PGM_RSRC2:TGID_Z_EN: 0
; COMPUTE_PGM_RSRC2:TIDIG_COMP_CNT: 0
	.text
	.p2alignl 6, 3214868480
	.fill 48, 4, 3214868480
	.type	__hip_cuid_f612ee99b06a126e,@object ; @__hip_cuid_f612ee99b06a126e
	.section	.bss,"aw",@nobits
	.globl	__hip_cuid_f612ee99b06a126e
__hip_cuid_f612ee99b06a126e:
	.byte	0                               ; 0x0
	.size	__hip_cuid_f612ee99b06a126e, 1

	.ident	"AMD clang version 19.0.0git (https://github.com/RadeonOpenCompute/llvm-project roc-6.4.0 25133 c7fe45cf4b819c5991fe208aaa96edf142730f1d)"
	.section	".note.GNU-stack","",@progbits
	.addrsig
	.addrsig_sym __hip_cuid_f612ee99b06a126e
	.amdgpu_metadata
---
amdhsa.kernels:
  - .args:
      - .actual_access:  read_only
        .address_space:  global
        .offset:         0
        .size:           8
        .value_kind:     global_buffer
      - .actual_access:  read_only
        .address_space:  global
        .offset:         8
        .size:           8
        .value_kind:     global_buffer
      - .actual_access:  read_only
        .address_space:  global
        .offset:         16
        .size:           8
        .value_kind:     global_buffer
      - .actual_access:  read_only
        .address_space:  global
        .offset:         24
        .size:           8
        .value_kind:     global_buffer
      - .actual_access:  read_only
        .address_space:  global
        .offset:         32
        .size:           8
        .value_kind:     global_buffer
      - .offset:         40
        .size:           8
        .value_kind:     by_value
      - .address_space:  global
        .offset:         48
        .size:           8
        .value_kind:     global_buffer
      - .address_space:  global
        .offset:         56
        .size:           8
        .value_kind:     global_buffer
      - .address_space:  global
        .offset:         64
        .size:           8
        .value_kind:     global_buffer
      - .address_space:  global
        .offset:         72
        .size:           8
        .value_kind:     global_buffer
      - .offset:         80
        .size:           4
        .value_kind:     by_value
      - .address_space:  global
        .offset:         88
        .size:           8
        .value_kind:     global_buffer
      - .address_space:  global
        .offset:         96
        .size:           8
        .value_kind:     global_buffer
    .group_segment_fixed_size: 7128
    .kernarg_segment_align: 8
    .kernarg_segment_size: 104
    .language:       OpenCL C
    .language_version:
      - 2
      - 0
    .max_flat_workgroup_size: 198
    .name:           bluestein_single_back_len891_dim1_half_op_CI_CI
    .private_segment_fixed_size: 0
    .sgpr_count:     22
    .sgpr_spill_count: 0
    .symbol:         bluestein_single_back_len891_dim1_half_op_CI_CI.kd
    .uniform_work_group_size: 1
    .uses_dynamic_stack: false
    .vgpr_count:     133
    .vgpr_spill_count: 0
    .wavefront_size: 32
    .workgroup_processor_mode: 1
amdhsa.target:   amdgcn-amd-amdhsa--gfx1030
amdhsa.version:
  - 1
  - 2
...

	.end_amdgpu_metadata
